;; amdgpu-corpus repo=ROCm/rocFFT kind=compiled arch=gfx1030 opt=O3
	.text
	.amdgcn_target "amdgcn-amd-amdhsa--gfx1030"
	.amdhsa_code_object_version 6
	.protected	fft_rtc_fwd_len3240_factors_3_3_10_6_6_wgs_108_tpt_108_halfLds_sp_op_CI_CI_unitstride_sbrr_R2C_dirReg ; -- Begin function fft_rtc_fwd_len3240_factors_3_3_10_6_6_wgs_108_tpt_108_halfLds_sp_op_CI_CI_unitstride_sbrr_R2C_dirReg
	.globl	fft_rtc_fwd_len3240_factors_3_3_10_6_6_wgs_108_tpt_108_halfLds_sp_op_CI_CI_unitstride_sbrr_R2C_dirReg
	.p2align	8
	.type	fft_rtc_fwd_len3240_factors_3_3_10_6_6_wgs_108_tpt_108_halfLds_sp_op_CI_CI_unitstride_sbrr_R2C_dirReg,@function
fft_rtc_fwd_len3240_factors_3_3_10_6_6_wgs_108_tpt_108_halfLds_sp_op_CI_CI_unitstride_sbrr_R2C_dirReg: ; @fft_rtc_fwd_len3240_factors_3_3_10_6_6_wgs_108_tpt_108_halfLds_sp_op_CI_CI_unitstride_sbrr_R2C_dirReg
; %bb.0:
	s_clause 0x2
	s_load_dwordx4 s[12:15], s[4:5], 0x0
	s_load_dwordx4 s[8:11], s[4:5], 0x58
	;; [unrolled: 1-line block ×3, first 2 shown]
	v_mul_u32_u24_e32 v1, 0x25f, v0
	v_mov_b32_e32 v3, 0
	v_add_nc_u32_sdwa v5, s6, v1 dst_sel:DWORD dst_unused:UNUSED_PAD src0_sel:DWORD src1_sel:WORD_1
	v_mov_b32_e32 v1, 0
	v_mov_b32_e32 v6, v3
	v_mov_b32_e32 v2, 0
	s_waitcnt lgkmcnt(0)
	v_cmp_lt_u64_e64 s0, s[14:15], 2
	s_and_b32 vcc_lo, exec_lo, s0
	s_cbranch_vccnz .LBB0_8
; %bb.1:
	s_load_dwordx2 s[0:1], s[4:5], 0x10
	v_mov_b32_e32 v1, 0
	v_mov_b32_e32 v2, 0
	s_add_u32 s2, s18, 8
	s_addc_u32 s3, s19, 0
	s_add_u32 s6, s16, 8
	s_addc_u32 s7, s17, 0
	v_mov_b32_e32 v63, v2
	v_mov_b32_e32 v62, v1
	s_mov_b64 s[22:23], 1
	s_waitcnt lgkmcnt(0)
	s_add_u32 s20, s0, 8
	s_addc_u32 s21, s1, 0
.LBB0_2:                                ; =>This Inner Loop Header: Depth=1
	s_load_dwordx2 s[24:25], s[20:21], 0x0
                                        ; implicit-def: $vgpr66_vgpr67
	s_mov_b32 s0, exec_lo
	s_waitcnt lgkmcnt(0)
	v_or_b32_e32 v4, s25, v6
	v_cmpx_ne_u64_e32 0, v[3:4]
	s_xor_b32 s1, exec_lo, s0
	s_cbranch_execz .LBB0_4
; %bb.3:                                ;   in Loop: Header=BB0_2 Depth=1
	v_cvt_f32_u32_e32 v4, s24
	v_cvt_f32_u32_e32 v7, s25
	s_sub_u32 s0, 0, s24
	s_subb_u32 s26, 0, s25
	v_fmac_f32_e32 v4, 0x4f800000, v7
	v_rcp_f32_e32 v4, v4
	v_mul_f32_e32 v4, 0x5f7ffffc, v4
	v_mul_f32_e32 v7, 0x2f800000, v4
	v_trunc_f32_e32 v7, v7
	v_fmac_f32_e32 v4, 0xcf800000, v7
	v_cvt_u32_f32_e32 v7, v7
	v_cvt_u32_f32_e32 v4, v4
	v_mul_lo_u32 v8, s0, v7
	v_mul_hi_u32 v9, s0, v4
	v_mul_lo_u32 v10, s26, v4
	v_add_nc_u32_e32 v8, v9, v8
	v_mul_lo_u32 v9, s0, v4
	v_add_nc_u32_e32 v8, v8, v10
	v_mul_hi_u32 v10, v4, v9
	v_mul_lo_u32 v11, v4, v8
	v_mul_hi_u32 v12, v4, v8
	v_mul_hi_u32 v13, v7, v9
	v_mul_lo_u32 v9, v7, v9
	v_mul_hi_u32 v14, v7, v8
	v_mul_lo_u32 v8, v7, v8
	v_add_co_u32 v10, vcc_lo, v10, v11
	v_add_co_ci_u32_e32 v11, vcc_lo, 0, v12, vcc_lo
	v_add_co_u32 v9, vcc_lo, v10, v9
	v_add_co_ci_u32_e32 v9, vcc_lo, v11, v13, vcc_lo
	v_add_co_ci_u32_e32 v10, vcc_lo, 0, v14, vcc_lo
	v_add_co_u32 v8, vcc_lo, v9, v8
	v_add_co_ci_u32_e32 v9, vcc_lo, 0, v10, vcc_lo
	v_add_co_u32 v4, vcc_lo, v4, v8
	v_add_co_ci_u32_e32 v7, vcc_lo, v7, v9, vcc_lo
	v_mul_hi_u32 v8, s0, v4
	v_mul_lo_u32 v10, s26, v4
	v_mul_lo_u32 v9, s0, v7
	v_add_nc_u32_e32 v8, v8, v9
	v_mul_lo_u32 v9, s0, v4
	v_add_nc_u32_e32 v8, v8, v10
	v_mul_hi_u32 v10, v4, v9
	v_mul_lo_u32 v11, v4, v8
	v_mul_hi_u32 v12, v4, v8
	v_mul_hi_u32 v13, v7, v9
	v_mul_lo_u32 v9, v7, v9
	v_mul_hi_u32 v14, v7, v8
	v_mul_lo_u32 v8, v7, v8
	v_add_co_u32 v10, vcc_lo, v10, v11
	v_add_co_ci_u32_e32 v11, vcc_lo, 0, v12, vcc_lo
	v_add_co_u32 v9, vcc_lo, v10, v9
	v_add_co_ci_u32_e32 v9, vcc_lo, v11, v13, vcc_lo
	v_add_co_ci_u32_e32 v10, vcc_lo, 0, v14, vcc_lo
	v_add_co_u32 v8, vcc_lo, v9, v8
	v_add_co_ci_u32_e32 v9, vcc_lo, 0, v10, vcc_lo
	v_add_co_u32 v4, vcc_lo, v4, v8
	v_add_co_ci_u32_e32 v11, vcc_lo, v7, v9, vcc_lo
	v_mul_hi_u32 v13, v5, v4
	v_mad_u64_u32 v[9:10], null, v6, v4, 0
	v_mad_u64_u32 v[7:8], null, v5, v11, 0
	;; [unrolled: 1-line block ×3, first 2 shown]
	v_add_co_u32 v4, vcc_lo, v13, v7
	v_add_co_ci_u32_e32 v7, vcc_lo, 0, v8, vcc_lo
	v_add_co_u32 v4, vcc_lo, v4, v9
	v_add_co_ci_u32_e32 v4, vcc_lo, v7, v10, vcc_lo
	v_add_co_ci_u32_e32 v7, vcc_lo, 0, v12, vcc_lo
	v_add_co_u32 v4, vcc_lo, v4, v11
	v_add_co_ci_u32_e32 v9, vcc_lo, 0, v7, vcc_lo
	v_mul_lo_u32 v10, s25, v4
	v_mad_u64_u32 v[7:8], null, s24, v4, 0
	v_mul_lo_u32 v11, s24, v9
	v_sub_co_u32 v7, vcc_lo, v5, v7
	v_add3_u32 v8, v8, v11, v10
	v_sub_nc_u32_e32 v10, v6, v8
	v_subrev_co_ci_u32_e64 v10, s0, s25, v10, vcc_lo
	v_add_co_u32 v11, s0, v4, 2
	v_add_co_ci_u32_e64 v12, s0, 0, v9, s0
	v_sub_co_u32 v13, s0, v7, s24
	v_sub_co_ci_u32_e32 v8, vcc_lo, v6, v8, vcc_lo
	v_subrev_co_ci_u32_e64 v10, s0, 0, v10, s0
	v_cmp_le_u32_e32 vcc_lo, s24, v13
	v_cmp_eq_u32_e64 s0, s25, v8
	v_cndmask_b32_e64 v13, 0, -1, vcc_lo
	v_cmp_le_u32_e32 vcc_lo, s25, v10
	v_cndmask_b32_e64 v14, 0, -1, vcc_lo
	v_cmp_le_u32_e32 vcc_lo, s24, v7
	;; [unrolled: 2-line block ×3, first 2 shown]
	v_cndmask_b32_e64 v15, 0, -1, vcc_lo
	v_cmp_eq_u32_e32 vcc_lo, s25, v10
	v_cndmask_b32_e64 v7, v15, v7, s0
	v_cndmask_b32_e32 v10, v14, v13, vcc_lo
	v_add_co_u32 v13, vcc_lo, v4, 1
	v_add_co_ci_u32_e32 v14, vcc_lo, 0, v9, vcc_lo
	v_cmp_ne_u32_e32 vcc_lo, 0, v10
	v_cndmask_b32_e32 v8, v14, v12, vcc_lo
	v_cndmask_b32_e32 v10, v13, v11, vcc_lo
	v_cmp_ne_u32_e32 vcc_lo, 0, v7
	v_cndmask_b32_e32 v67, v9, v8, vcc_lo
	v_cndmask_b32_e32 v66, v4, v10, vcc_lo
.LBB0_4:                                ;   in Loop: Header=BB0_2 Depth=1
	s_andn2_saveexec_b32 s0, s1
	s_cbranch_execz .LBB0_6
; %bb.5:                                ;   in Loop: Header=BB0_2 Depth=1
	v_cvt_f32_u32_e32 v4, s24
	s_sub_i32 s1, 0, s24
	v_mov_b32_e32 v67, v3
	v_rcp_iflag_f32_e32 v4, v4
	v_mul_f32_e32 v4, 0x4f7ffffe, v4
	v_cvt_u32_f32_e32 v4, v4
	v_mul_lo_u32 v7, s1, v4
	v_mul_hi_u32 v7, v4, v7
	v_add_nc_u32_e32 v4, v4, v7
	v_mul_hi_u32 v4, v5, v4
	v_mul_lo_u32 v7, v4, s24
	v_add_nc_u32_e32 v8, 1, v4
	v_sub_nc_u32_e32 v7, v5, v7
	v_subrev_nc_u32_e32 v9, s24, v7
	v_cmp_le_u32_e32 vcc_lo, s24, v7
	v_cndmask_b32_e32 v7, v7, v9, vcc_lo
	v_cndmask_b32_e32 v4, v4, v8, vcc_lo
	v_cmp_le_u32_e32 vcc_lo, s24, v7
	v_add_nc_u32_e32 v8, 1, v4
	v_cndmask_b32_e32 v66, v4, v8, vcc_lo
.LBB0_6:                                ;   in Loop: Header=BB0_2 Depth=1
	s_or_b32 exec_lo, exec_lo, s0
	v_mul_lo_u32 v4, v67, s24
	v_mul_lo_u32 v9, v66, s25
	s_load_dwordx2 s[0:1], s[6:7], 0x0
	v_mad_u64_u32 v[7:8], null, v66, s24, 0
	s_load_dwordx2 s[24:25], s[2:3], 0x0
	s_add_u32 s22, s22, 1
	s_addc_u32 s23, s23, 0
	s_add_u32 s2, s2, 8
	s_addc_u32 s3, s3, 0
	s_add_u32 s6, s6, 8
	v_add3_u32 v4, v8, v9, v4
	v_sub_co_u32 v5, vcc_lo, v5, v7
	s_addc_u32 s7, s7, 0
	s_add_u32 s20, s20, 8
	v_sub_co_ci_u32_e32 v4, vcc_lo, v6, v4, vcc_lo
	s_addc_u32 s21, s21, 0
	s_waitcnt lgkmcnt(0)
	v_mul_lo_u32 v6, s0, v4
	v_mul_lo_u32 v7, s1, v5
	v_mad_u64_u32 v[1:2], null, s0, v5, v[1:2]
	v_mul_lo_u32 v4, s24, v4
	v_mul_lo_u32 v8, s25, v5
	v_mad_u64_u32 v[62:63], null, s24, v5, v[62:63]
	v_cmp_ge_u64_e64 s0, s[22:23], s[14:15]
	v_add3_u32 v2, v7, v2, v6
	v_add3_u32 v63, v8, v63, v4
	s_and_b32 vcc_lo, exec_lo, s0
	s_cbranch_vccnz .LBB0_9
; %bb.7:                                ;   in Loop: Header=BB0_2 Depth=1
	v_mov_b32_e32 v5, v66
	v_mov_b32_e32 v6, v67
	s_branch .LBB0_2
.LBB0_8:
	v_mov_b32_e32 v63, v2
	v_mov_b32_e32 v67, v6
	;; [unrolled: 1-line block ×4, first 2 shown]
.LBB0_9:
	s_load_dwordx2 s[0:1], s[4:5], 0x28
	v_mul_hi_u32 v3, 0x25ed098, v0
	s_lshl_b64 s[4:5], s[14:15], 3
                                        ; implicit-def: $vgpr60
                                        ; implicit-def: $vgpr64
                                        ; implicit-def: $vgpr75
                                        ; implicit-def: $vgpr74
                                        ; implicit-def: $vgpr73
                                        ; implicit-def: $vgpr72
                                        ; implicit-def: $vgpr71
                                        ; implicit-def: $vgpr70
                                        ; implicit-def: $vgpr69
                                        ; implicit-def: $vgpr68
	s_add_u32 s2, s18, s4
	s_addc_u32 s3, s19, s5
	s_waitcnt lgkmcnt(0)
	v_cmp_gt_u64_e32 vcc_lo, s[0:1], v[66:67]
	v_cmp_le_u64_e64 s0, s[0:1], v[66:67]
	s_and_saveexec_b32 s1, s0
	s_xor_b32 s0, exec_lo, s1
; %bb.10:
	v_mul_u32_u24_e32 v1, 0x6c, v3
                                        ; implicit-def: $vgpr3
	v_sub_nc_u32_e32 v60, v0, v1
                                        ; implicit-def: $vgpr0
                                        ; implicit-def: $vgpr1_vgpr2
	v_add_nc_u32_e32 v64, 0x6c, v60
	v_add_nc_u32_e32 v75, 0xd8, v60
	;; [unrolled: 1-line block ×9, first 2 shown]
; %bb.11:
	s_andn2_saveexec_b32 s1, s0
	s_cbranch_execz .LBB0_13
; %bb.12:
	s_add_u32 s4, s16, s4
	s_addc_u32 s5, s17, s5
	v_lshlrev_b64 v[1:2], 3, v[1:2]
	s_load_dwordx2 s[4:5], s[4:5], 0x0
	s_waitcnt lgkmcnt(0)
	v_mul_lo_u32 v6, s5, v66
	v_mul_lo_u32 v7, s4, v67
	v_mad_u64_u32 v[4:5], null, s4, v66, 0
	v_add3_u32 v5, v5, v7, v6
	v_mul_u32_u24_e32 v6, 0x6c, v3
	v_lshlrev_b64 v[3:4], 3, v[4:5]
	v_sub_nc_u32_e32 v60, v0, v6
	v_lshlrev_b32_e32 v61, 3, v60
	v_add_co_u32 v0, s0, s8, v3
	v_add_co_ci_u32_e64 v3, s0, s9, v4, s0
	v_add_nc_u32_e32 v64, 0x6c, v60
	v_add_co_u32 v0, s0, v0, v1
	v_add_co_ci_u32_e64 v1, s0, v3, v2, s0
	v_add_nc_u32_e32 v75, 0xd8, v60
	v_add_co_u32 v0, s0, v0, v61
	v_add_co_ci_u32_e64 v1, s0, 0, v1, s0
	v_add_nc_u32_e32 v61, 0, v61
	v_add_co_u32 v2, s0, 0x800, v0
	v_add_co_ci_u32_e64 v3, s0, 0, v1, s0
	v_add_co_u32 v4, s0, 0x1000, v0
	v_add_co_ci_u32_e64 v5, s0, 0, v1, s0
	;; [unrolled: 2-line block ×11, first 2 shown]
	s_clause 0x3
	global_load_dwordx2 v[6:7], v[0:1], off
	global_load_dwordx2 v[20:21], v[2:3], off offset:544
	global_load_dwordx2 v[22:23], v[0:1], off offset:1728
	;; [unrolled: 1-line block ×3, first 2 shown]
	v_add_co_u32 v0, s0, 0x6000, v0
	v_add_co_ci_u32_e64 v1, s0, 0, v1, s0
	s_clause 0x19
	global_load_dwordx2 v[2:3], v[2:3], off offset:1408
	global_load_dwordx2 v[30:31], v[4:5], off offset:224
	;; [unrolled: 1-line block ×26, first 2 shown]
	v_add_nc_u32_e32 v74, 0x144, v60
	v_add_nc_u32_e32 v73, 0x1b0, v60
	;; [unrolled: 1-line block ×21, first 2 shown]
	s_waitcnt vmcnt(27)
	ds_write2_b64 v65, v[22:23], v[20:21] offset0:88 offset1:196
	s_waitcnt vmcnt(24)
	ds_write2_b64 v76, v[2:3], v[30:31] offset0:48 offset1:156
	;; [unrolled: 2-line block ×7, first 2 shown]
	ds_write2_b64 v61, v[6:7], v[24:25] offset1:108
	s_waitcnt vmcnt(12)
	ds_write2_b64 v82, v[14:15], v[46:47] offset0:64 offset1:172
	s_waitcnt vmcnt(10)
	ds_write2_b64 v83, v[16:17], v[48:49] offset0:24 offset1:132
	;; [unrolled: 2-line block ×7, first 2 shown]
.LBB0_13:
	s_or_b32 exec_lo, exec_lo, s1
	v_lshlrev_b32_e32 v61, 3, v60
	s_load_dwordx2 s[2:3], s[2:3], 0x0
	s_waitcnt lgkmcnt(0)
	s_barrier
	buffer_gl0_inv
	v_add_nc_u32_e32 v88, 0, v61
	v_and_b32_e32 v116, 0xff, v64
	v_cmp_gt_u32_e64 s0, 0x5a, v60
	s_add_u32 s1, s12, 0x6528
	s_addc_u32 s4, s13, 0
	v_add_nc_u32_e32 v100, 0x2000, v88
	v_add_nc_u32_e32 v65, 0x4000, v88
	;; [unrolled: 1-line block ×4, first 2 shown]
	ds_read2_b64 v[0:3], v88 offset1:108
	ds_read2_b64 v[4:7], v100 offset0:56 offset1:164
	ds_read2_b64 v[8:11], v65 offset0:112 offset1:220
	v_add_nc_u32_e32 v98, 0x4800, v88
	v_add_nc_u32_e32 v44, 0xc00, v88
	ds_read2_b64 v[12:15], v12 offset0:88 offset1:196
	ds_read2_b64 v[16:19], v99 offset0:16 offset1:124
	;; [unrolled: 1-line block ×3, first 2 shown]
	v_add_nc_u32_e32 v102, 0x2c00, v88
	v_add_nc_u32_e32 v101, 0x5000, v88
	ds_read2_b64 v[24:27], v44 offset0:48 offset1:156
	v_add_nc_u32_e32 v108, 0x1000, v88
	v_add_nc_u32_e32 v104, 0x3400, v88
	;; [unrolled: 1-line block ×6, first 2 shown]
	s_mov_b32 s5, exec_lo
	s_waitcnt lgkmcnt(5)
	v_add_f32_e32 v28, v0, v4
	s_waitcnt lgkmcnt(4)
	v_add_f32_e32 v51, v4, v8
	v_sub_f32_e32 v52, v5, v9
	v_add_f32_e32 v29, v1, v5
	v_add_f32_e32 v53, v5, v9
	v_sub_f32_e32 v54, v4, v8
	v_add_f32_e32 v4, v2, v6
	v_add_f32_e32 v5, v3, v7
	;; [unrolled: 1-line block ×3, first 2 shown]
	v_sub_f32_e32 v56, v7, v11
	v_add_f32_e32 v57, v7, v11
	v_sub_f32_e32 v58, v6, v10
	v_add_f32_e32 v40, v28, v8
	v_add_f32_e32 v41, v29, v9
	;; [unrolled: 1-line block ×4, first 2 shown]
	ds_read2_b64 v[4:7], v102 offset0:104 offset1:212
	ds_read2_b64 v[8:11], v101 offset0:32 offset1:140
	s_waitcnt lgkmcnt(4)
	v_add_f32_e32 v30, v12, v16
	v_add_f32_e32 v31, v13, v17
	s_waitcnt lgkmcnt(3)
	v_add_f32_e32 v59, v16, v20
	v_sub_f32_e32 v76, v17, v21
	v_add_f32_e32 v77, v17, v21
	v_sub_f32_e32 v78, v16, v20
	v_add_f32_e32 v36, v14, v18
	v_add_f32_e32 v79, v18, v22
	v_sub_f32_e32 v80, v19, v23
	v_add_f32_e32 v37, v15, v19
	v_add_f32_e32 v81, v19, v23
	v_sub_f32_e32 v82, v18, v22
	v_add_f32_e32 v45, v30, v20
	v_add_f32_e32 v46, v31, v21
	ds_read2_b64 v[16:19], v108 offset0:136 offset1:244
	ds_read2_b64 v[28:31], v104 offset0:64 offset1:172
	;; [unrolled: 1-line block ×3, first 2 shown]
	v_add_f32_e32 v47, v36, v22
	v_add_f32_e32 v48, v37, v23
	v_fma_f32 v0, -0.5, v51, v0
	s_waitcnt lgkmcnt(4)
	v_add_f32_e32 v20, v24, v4
	v_add_f32_e32 v21, v25, v5
	s_waitcnt lgkmcnt(3)
	v_add_f32_e32 v83, v4, v8
	v_sub_f32_e32 v84, v5, v9
	v_add_f32_e32 v85, v5, v9
	v_sub_f32_e32 v4, v4, v8
	v_add_f32_e32 v86, v26, v6
	v_add_f32_e32 v87, v6, v10
	v_sub_f32_e32 v89, v7, v11
	v_add_f32_e32 v90, v27, v7
	;; [unrolled: 3-line block ×3, first 2 shown]
	v_add_f32_e32 v50, v21, v9
	ds_read2_b64 v[5:8], v107 offset0:96 offset1:204
	ds_read2_b64 v[20:23], v106 offset0:24 offset1:132
	;; [unrolled: 1-line block ×3, first 2 shown]
	v_add_f32_e32 v9, v86, v10
	v_add_f32_e32 v10, v90, v11
	s_waitcnt lgkmcnt(4)
	v_add_f32_e32 v11, v16, v28
	v_add_f32_e32 v93, v17, v29
	s_waitcnt lgkmcnt(3)
	v_add_f32_e32 v86, v28, v32
	v_sub_f32_e32 v90, v29, v33
	v_add_f32_e32 v94, v29, v33
	v_sub_f32_e32 v95, v28, v32
	v_add_f32_e32 v96, v18, v30
	v_add_f32_e32 v110, v19, v31
	;; [unrolled: 1-line block ×4, first 2 shown]
	v_fma_f32 v1, -0.5, v53, v1
	v_add_f32_e32 v97, v30, v34
	v_sub_f32_e32 v109, v31, v35
	v_add_f32_e32 v111, v31, v35
	v_sub_f32_e32 v112, v30, v34
	v_add_f32_e32 v30, v96, v34
	s_waitcnt lgkmcnt(1)
	v_add_f32_e32 v11, v5, v20
	v_add_f32_e32 v32, v6, v21
	;; [unrolled: 1-line block ×4, first 2 shown]
	s_waitcnt lgkmcnt(0)
	v_add_f32_e32 v34, v20, v36
	v_sub_f32_e32 v35, v21, v37
	v_add_f32_e32 v96, v21, v37
	v_sub_f32_e32 v110, v20, v36
	;; [unrolled: 2-line block ×3, first 2 shown]
	v_add_f32_e32 v20, v11, v36
	v_add_f32_e32 v21, v32, v37
	v_add_f32_e32 v22, v33, v38
	v_fmamk_f32 v32, v52, 0x3f5db3d7, v0
	v_fmamk_f32 v33, v54, 0xbf5db3d7, v1
	v_fma_f32 v2, -0.5, v55, v2
	v_mad_u32_u24 v36, v60, 24, 0
	v_fmac_f32_e32 v3, -0.5, v57
	v_fmac_f32_e32 v0, 0xbf5db3d7, v52
	v_fmac_f32_e32 v1, 0x3f5db3d7, v54
	v_fma_f32 v11, -0.5, v59, v12
	v_fma_f32 v12, -0.5, v77, v13
	s_barrier
	buffer_gl0_inv
	ds_write2_b64 v36, v[40:41], v[32:33] offset1:1
	v_fmamk_f32 v32, v56, 0x3f5db3d7, v2
	v_fmamk_f32 v33, v58, 0xbf5db3d7, v3
	v_mad_i32_i24 v37, v64, 24, 0
	v_fmac_f32_e32 v2, 0xbf5db3d7, v56
	v_fmac_f32_e32 v3, 0x3f5db3d7, v58
	ds_write_b64 v36, v[0:1] offset:16
	ds_write2_b64 v37, v[42:43], v[32:33] offset1:1
	ds_write_b64 v37, v[2:3] offset:16
	v_fmamk_f32 v0, v76, 0x3f5db3d7, v11
	v_fmamk_f32 v1, v78, 0xbf5db3d7, v12
	v_fma_f32 v14, -0.5, v79, v14
	v_fmac_f32_e32 v15, -0.5, v81
	v_mad_i32_i24 v13, v75, 24, 0
	v_fmac_f32_e32 v11, 0xbf5db3d7, v76
	v_fmac_f32_e32 v12, 0x3f5db3d7, v78
	v_fmamk_f32 v2, v80, 0x3f5db3d7, v14
	v_fmamk_f32 v3, v82, 0xbf5db3d7, v15
	v_mad_i32_i24 v32, v74, 24, 0
	ds_write2_b64 v13, v[45:46], v[0:1] offset1:1
	ds_write_b64 v13, v[11:12] offset:16
	v_fma_f32 v0, -0.5, v83, v24
	v_fma_f32 v1, -0.5, v85, v25
	v_fmac_f32_e32 v14, 0xbf5db3d7, v80
	v_fmac_f32_e32 v15, 0x3f5db3d7, v82
	ds_write2_b64 v32, v[47:48], v[2:3] offset1:1
	v_fmamk_f32 v2, v84, 0x3f5db3d7, v0
	v_fmamk_f32 v3, v4, 0xbf5db3d7, v1
	v_mad_i32_i24 v11, v73, 24, 0
	v_fmac_f32_e32 v0, 0xbf5db3d7, v84
	v_fmac_f32_e32 v1, 0x3f5db3d7, v4
	v_add_f32_e32 v93, v8, v23
	v_fma_f32 v26, -0.5, v87, v26
	v_fmac_f32_e32 v27, -0.5, v91
	ds_write_b64 v32, v[14:15] offset:16
	ds_write2_b64 v11, v[49:50], v[2:3] offset1:1
	ds_write_b64 v11, v[0:1] offset:16
	v_fma_f32 v2, -0.5, v86, v16
	v_fma_f32 v3, -0.5, v94, v17
	;; [unrolled: 1-line block ×3, first 2 shown]
	v_fmac_f32_e32 v19, -0.5, v111
	v_sub_f32_e32 v114, v23, v39
	v_add_f32_e32 v115, v23, v39
	v_add_f32_e32 v23, v93, v39
	v_fmamk_f32 v0, v89, 0x3f5db3d7, v26
	v_fmamk_f32 v1, v92, 0xbf5db3d7, v27
	v_mad_i32_i24 v93, v72, 24, 0
	v_and_b32_e32 v4, 0xff, v60
	v_fmac_f32_e32 v26, 0xbf5db3d7, v89
	v_fmac_f32_e32 v27, 0x3f5db3d7, v92
	v_fmamk_f32 v11, v90, 0x3f5db3d7, v2
	v_fmamk_f32 v12, v95, 0xbf5db3d7, v3
	v_mad_i32_i24 v91, v71, 24, 0
	v_fmac_f32_e32 v2, 0xbf5db3d7, v90
	v_fmac_f32_e32 v3, 0x3f5db3d7, v95
	v_fmamk_f32 v13, v109, 0x3f5db3d7, v18
	v_fmamk_f32 v14, v112, 0xbf5db3d7, v19
	v_mad_i32_i24 v89, v70, 24, 0
	ds_write2_b64 v93, v[9:10], v[0:1] offset1:1
	ds_write_b64 v93, v[26:27] offset:16
	ds_write2_b64 v91, v[28:29], v[11:12] offset1:1
	ds_write_b64 v91, v[2:3] offset:16
	ds_write2_b64 v89, v[30:31], v[13:14] offset1:1
	v_mul_lo_u16 v0, 0xab, v4
	v_fma_f32 v2, -0.5, v34, v5
	v_fma_f32 v3, -0.5, v96, v6
	v_mul_lo_u16 v1, 0xab, v116
	v_fma_f32 v7, -0.5, v113, v7
	v_lshrrev_b16 v0, 9, v0
	v_fmac_f32_e32 v8, -0.5, v115
	v_fmac_f32_e32 v18, 0xbf5db3d7, v109
	v_fmac_f32_e32 v19, 0x3f5db3d7, v112
	v_fmamk_f32 v5, v35, 0x3f5db3d7, v2
	v_fmamk_f32 v6, v110, 0xbf5db3d7, v3
	v_mul_lo_u16 v11, v0, 3
	v_mad_i32_i24 v92, v69, 24, 0
	v_lshrrev_b16 v14, 9, v1
	v_fmac_f32_e32 v2, 0xbf5db3d7, v35
	v_fmac_f32_e32 v3, 0x3f5db3d7, v110
	v_fmamk_f32 v9, v114, 0x3f5db3d7, v7
	v_fmamk_f32 v10, v117, 0xbf5db3d7, v8
	v_mad_i32_i24 v90, v68, 24, 0
	ds_write_b64 v89, v[18:19] offset:16
	v_sub_nc_u16 v1, v60, v11
	v_mul_lo_u16 v11, v14, 3
	ds_write2_b64 v92, v[20:21], v[5:6] offset1:1
	ds_write_b64 v92, v[2:3] offset:16
	ds_write2_b64 v90, v[22:23], v[9:10] offset1:1
	v_mov_b32_e32 v2, 0xaaab
	v_fmac_f32_e32 v7, 0xbf5db3d7, v114
	v_mov_b32_e32 v43, 4
	v_fmac_f32_e32 v8, 0x3f5db3d7, v117
	v_sub_nc_u16 v21, v64, v11
	v_mul_u32_u24_sdwa v5, v75, v2 dst_sel:DWORD dst_unused:UNUSED_PAD src0_sel:WORD_0 src1_sel:DWORD
	v_mul_u32_u24_sdwa v6, v74, v2 dst_sel:DWORD dst_unused:UNUSED_PAD src0_sel:WORD_0 src1_sel:DWORD
	v_lshlrev_b32_sdwa v3, v43, v1 dst_sel:DWORD dst_unused:UNUSED_PAD src0_sel:DWORD src1_sel:BYTE_0
	ds_write_b64 v90, v[7:8] offset:16
	v_lshlrev_b32_sdwa v7, v43, v21 dst_sel:DWORD dst_unused:UNUSED_PAD src0_sel:DWORD src1_sel:BYTE_0
	v_lshrrev_b32_e32 v19, 17, v5
	s_waitcnt lgkmcnt(0)
	s_barrier
	buffer_gl0_inv
	v_lshrrev_b32_e32 v12, 17, v6
	s_clause 0x1
	global_load_dwordx4 v[23:26], v3, s[12:13]
	global_load_dwordx4 v[27:30], v7, s[12:13]
	v_mul_lo_u16 v3, v19, 3
	v_mov_b32_e32 v115, 3
	v_mul_lo_u16 v5, v12, 3
	v_lshl_add_u32 v96, v64, 3, 0
	v_lshl_add_u32 v95, v75, 3, 0
	v_sub_nc_u16 v20, v75, v3
	v_mul_u32_u24_sdwa v3, v73, v2 dst_sel:DWORD dst_unused:UNUSED_PAD src0_sel:WORD_0 src1_sel:DWORD
	v_sub_nc_u16 v15, v74, v5
	v_mul_u32_u24_sdwa v5, v72, v2 dst_sel:DWORD dst_unused:UNUSED_PAD src0_sel:WORD_0 src1_sel:DWORD
	v_lshlrev_b32_sdwa v58, v115, v1 dst_sel:DWORD dst_unused:UNUSED_PAD src0_sel:DWORD src1_sel:BYTE_0
	v_lshlrev_b32_sdwa v6, v43, v20 dst_sel:DWORD dst_unused:UNUSED_PAD src0_sel:DWORD src1_sel:WORD_0
	v_lshrrev_b32_e32 v18, 17, v3
	v_lshlrev_b32_sdwa v7, v43, v15 dst_sel:DWORD dst_unused:UNUSED_PAD src0_sel:DWORD src1_sel:WORD_0
	v_lshrrev_b32_e32 v9, 17, v5
	v_lshl_add_u32 v94, v74, 3, 0
	global_load_dwordx4 v[31:34], v6, s[12:13]
	v_mul_lo_u16 v3, v18, 3
	global_load_dwordx4 v[35:38], v7, s[12:13]
	v_mul_lo_u16 v5, v9, 3
	v_lshlrev_b32_e32 v111, 4, v72
	v_lshlrev_b32_e32 v109, 4, v70
	v_sub_nc_u16 v22, v73, v3
	v_mul_u32_u24_sdwa v3, v70, v2 dst_sel:DWORD dst_unused:UNUSED_PAD src0_sel:WORD_0 src1_sel:DWORD
	v_sub_nc_u16 v17, v72, v5
	v_lshlrev_b32_e32 v112, 4, v71
	v_lshlrev_b32_e32 v110, 4, v69
	v_lshlrev_b32_sdwa v5, v43, v22 dst_sel:DWORD dst_unused:UNUSED_PAD src0_sel:DWORD src1_sel:WORD_0
	v_lshrrev_b32_e32 v7, 17, v3
	v_lshl_add_u32 v97, v73, 3, 0
	v_lshlrev_b32_sdwa v21, v115, v21 dst_sel:DWORD dst_unused:UNUSED_PAD src0_sel:DWORD src1_sel:BYTE_0
	v_mul_u32_u24_e32 v12, 0x48, v12
	global_load_dwordx4 v[39:42], v5, s[12:13]
	v_mul_u32_u24_sdwa v6, v71, v2 dst_sel:DWORD dst_unused:UNUSED_PAD src0_sel:WORD_0 src1_sel:DWORD
	v_mul_lo_u16 v5, v7, 3
	v_mul_u32_u24_e32 v18, 0x48, v18
	v_mul_u32_u24_e32 v9, 0x48, v9
	v_mul_lo_u16 v4, v4, 57
	v_lshrrev_b32_e32 v13, 17, v6
	v_lshlrev_b32_sdwa v6, v43, v17 dst_sel:DWORD dst_unused:UNUSED_PAD src0_sel:DWORD src1_sel:WORD_0
	v_sub_nc_u16 v8, v70, v5
	v_lshlrev_b32_sdwa v17, v115, v17 dst_sel:DWORD dst_unused:UNUSED_PAD src0_sel:DWORD src1_sel:WORD_0
	v_mul_lo_u16 v3, v13, 3
	global_load_dwordx4 v[45:48], v6, s[12:13]
	v_add3_u32 v9, 0, v9, v17
	v_sub_nc_u16 v16, v71, v3
	v_mul_u32_u24_sdwa v3, v69, v2 dst_sel:DWORD dst_unused:UNUSED_PAD src0_sel:WORD_0 src1_sel:DWORD
	v_mul_u32_u24_sdwa v2, v68, v2 dst_sel:DWORD dst_unused:UNUSED_PAD src0_sel:WORD_0 src1_sel:DWORD
	v_lshlrev_b32_sdwa v5, v43, v16 dst_sel:DWORD dst_unused:UNUSED_PAD src0_sel:DWORD src1_sel:WORD_0
	v_lshrrev_b32_e32 v10, 17, v3
	v_lshlrev_b32_sdwa v16, v115, v16 dst_sel:DWORD dst_unused:UNUSED_PAD src0_sel:DWORD src1_sel:WORD_0
	global_load_dwordx4 v[49:52], v5, s[12:13]
	v_lshlrev_b32_sdwa v6, v43, v8 dst_sel:DWORD dst_unused:UNUSED_PAD src0_sel:DWORD src1_sel:WORD_0
	v_mul_lo_u16 v3, v10, 3
	v_mul_u32_u24_e32 v10, 0x48, v10
	global_load_dwordx4 v[53:56], v6, s[12:13]
	v_lshrrev_b32_e32 v6, 17, v2
	v_sub_nc_u16 v11, v69, v3
	v_mul_lo_u16 v2, v6, 3
	v_lshlrev_b32_sdwa v3, v43, v11 dst_sel:DWORD dst_unused:UNUSED_PAD src0_sel:DWORD src1_sel:WORD_0
	v_lshlrev_b32_sdwa v11, v115, v11 dst_sel:DWORD dst_unused:UNUSED_PAD src0_sel:DWORD src1_sel:WORD_0
	v_mul_u32_u24_e32 v6, 0x48, v6
	v_sub_nc_u16 v5, v68, v2
	global_load_dwordx4 v[76:79], v3, s[12:13]
	v_lshlrev_b32_sdwa v2, v43, v5 dst_sel:DWORD dst_unused:UNUSED_PAD src0_sel:DWORD src1_sel:WORD_0
	v_mov_b32_e32 v43, 0x48
	v_lshlrev_b32_sdwa v5, v115, v5 dst_sel:DWORD dst_unused:UNUSED_PAD src0_sel:DWORD src1_sel:WORD_0
	global_load_dwordx4 v[80:83], v2, s[12:13]
	ds_read2_b64 v[84:87], v100 offset0:56 offset1:164
	ds_read2_b64 v[117:120], v65 offset0:112 offset1:220
	v_mul_u32_u24_sdwa v57, v0, v43 dst_sel:DWORD dst_unused:UNUSED_PAD src0_sel:WORD_0 src1_sel:DWORD
	ds_read2_b64 v[0:3], v99 offset0:16 offset1:124
	ds_read2_b64 v[121:124], v98 offset0:72 offset1:180
	;; [unrolled: 1-line block ×3, first 2 shown]
	v_mul_u32_u24_sdwa v14, v14, v43 dst_sel:DWORD dst_unused:UNUSED_PAD src0_sel:WORD_0 src1_sel:DWORD
	v_add3_u32 v57, 0, v57, v58
	v_add3_u32 v14, 0, v14, v21
	s_waitcnt vmcnt(9) lgkmcnt(4)
	v_mul_f32_e32 v59, v24, v85
	v_mul_f32_e32 v113, v24, v84
	s_waitcnt lgkmcnt(3)
	v_mul_f32_e32 v24, v118, v26
	v_mul_f32_e32 v114, v117, v26
	s_waitcnt vmcnt(8)
	v_mul_f32_e32 v129, v87, v28
	v_mul_f32_e32 v130, v86, v28
	;; [unrolled: 1-line block ×3, first 2 shown]
	v_fma_f32 v59, v23, v84, -v59
	v_fmac_f32_e32 v113, v23, v85
	v_fma_f32 v117, v117, v25, -v24
	v_fmac_f32_e32 v114, v118, v25
	ds_read2_b64 v[23:26], v101 offset0:32 offset1:140
	v_mul_f32_e32 v118, v119, v30
	v_fma_f32 v129, v86, v27, -v129
	v_fmac_f32_e32 v130, v87, v27
	v_fma_f32 v119, v119, v29, -v28
	ds_read2_b64 v[84:87], v104 offset0:64 offset1:172
	s_waitcnt vmcnt(7) lgkmcnt(4)
	v_mul_f32_e32 v27, v1, v32
	s_waitcnt lgkmcnt(3)
	v_mul_f32_e32 v28, v122, v34
	v_fmac_f32_e32 v118, v120, v29
	v_mul_f32_e32 v131, v121, v34
	v_mul_f32_e32 v120, v0, v32
	v_fma_f32 v133, v0, v31, -v27
	v_fma_f32 v121, v121, v33, -v28
	ds_read2_b64 v[27:30], v103 offset0:120 offset1:228
	s_waitcnt vmcnt(6)
	v_mul_f32_e32 v32, v3, v36
	v_mul_f32_e32 v132, v2, v36
	v_fmac_f32_e32 v120, v1, v31
	v_fmac_f32_e32 v131, v122, v33
	v_mul_f32_e32 v31, v124, v38
	v_mul_f32_e32 v122, v123, v38
	v_fma_f32 v134, v2, v35, -v32
	v_fmac_f32_e32 v132, v3, v35
	ds_read2_b64 v[0:3], v106 offset0:24 offset1:132
	v_fma_f32 v123, v123, v37, -v31
	v_fmac_f32_e32 v122, v124, v37
	s_waitcnt vmcnt(5) lgkmcnt(4)
	v_mul_f32_e32 v31, v126, v40
	v_mul_f32_e32 v124, v125, v40
	s_waitcnt lgkmcnt(3)
	v_mul_f32_e32 v32, v24, v42
	v_mul_f32_e32 v135, v23, v42
	v_add_f32_e32 v58, v129, v119
	v_fma_f32 v125, v125, v39, -v31
	v_fmac_f32_e32 v124, v126, v39
	v_fma_f32 v126, v23, v41, -v32
	ds_read2_b64 v[31:34], v105 offset0:80 offset1:188
	s_waitcnt vmcnt(4)
	v_mul_f32_e32 v35, v128, v46
	v_mul_f32_e32 v136, v127, v46
	;; [unrolled: 1-line block ×3, first 2 shown]
	v_fmac_f32_e32 v135, v24, v41
	v_mul_f32_e32 v137, v25, v48
	v_fma_f32 v127, v127, v45, -v35
	v_fmac_f32_e32 v136, v128, v45
	v_fma_f32 v139, v25, v47, -v23
	v_sub_nc_u32_e32 v46, v91, v112
	v_fmac_f32_e32 v137, v26, v47
	v_sub_f32_e32 v43, v130, v118
	v_add_f32_e32 v21, v133, v121
	s_waitcnt vmcnt(3) lgkmcnt(3)
	v_mul_f32_e32 v128, v84, v50
	s_waitcnt lgkmcnt(2)
	v_mul_f32_e32 v35, v28, v52
	v_mul_f32_e32 v138, v27, v52
	;; [unrolled: 1-line block ×3, first 2 shown]
	v_sub_f32_e32 v52, v59, v117
	v_fmac_f32_e32 v128, v85, v49
	v_fma_f32 v85, v27, v51, -v35
	v_fmac_f32_e32 v138, v28, v51
	ds_read_b64 v[27:28], v88
	ds_read_b64 v[35:36], v96
	;; [unrolled: 1-line block ×4, first 2 shown]
	s_waitcnt vmcnt(2)
	v_mul_f32_e32 v23, v87, v54
	v_mul_f32_e32 v54, v86, v54
	v_fma_f32 v84, v84, v49, -v24
	v_mul_f32_e32 v24, v30, v56
	v_mul_f32_e32 v56, v29, v56
	v_fma_f32 v86, v86, v53, -v23
	v_fmac_f32_e32 v54, v87, v53
	v_sub_f32_e32 v51, v113, v114
	s_waitcnt vmcnt(1) lgkmcnt(5)
	v_mul_f32_e32 v23, v1, v77
	v_mul_f32_e32 v53, v0, v77
	s_waitcnt lgkmcnt(4)
	v_mul_f32_e32 v25, v32, v79
	v_mul_f32_e32 v77, v31, v79
	v_fma_f32 v79, v29, v55, -v24
	v_fmac_f32_e32 v56, v30, v55
	v_fma_f32 v55, v0, v76, -v23
	v_fmac_f32_e32 v53, v1, v76
	v_add_f32_e32 v0, v59, v117
	s_waitcnt vmcnt(0)
	v_mul_f32_e32 v29, v3, v81
	v_mul_f32_e32 v24, v2, v81
	v_add_f32_e32 v1, v113, v114
	v_mul_f32_e32 v30, v34, v83
	v_mul_f32_e32 v26, v33, v83
	v_fma_f32 v23, v2, v80, -v29
	v_fmac_f32_e32 v24, v3, v80
	s_waitcnt lgkmcnt(3)
	v_add_f32_e32 v2, v27, v59
	v_add_f32_e32 v3, v28, v113
	v_fma_f32 v27, -0.5, v0, v27
	v_fmac_f32_e32 v28, -0.5, v1
	v_fma_f32 v76, v31, v78, -v25
	v_fmac_f32_e32 v77, v32, v78
	v_fma_f32 v25, v33, v82, -v30
	v_add_f32_e32 v30, v3, v114
	v_add_f32_e32 v29, v2, v117
	v_fmamk_f32 v31, v51, 0x3f5db3d7, v27
	v_fmamk_f32 v32, v52, 0xbf5db3d7, v28
	v_lshlrev_b32_e32 v113, 4, v68
	v_sub_nc_u32_e32 v114, v93, v111
	v_sub_nc_u32_e32 v0, v89, v109
	;; [unrolled: 1-line block ×3, first 2 shown]
	v_fmac_f32_e32 v26, v34, v82
	v_sub_nc_u32_e32 v45, v90, v113
	ds_read_b64 v[33:34], v97
	ds_read_b64 v[41:42], v114
	;; [unrolled: 1-line block ×6, first 2 shown]
	s_waitcnt lgkmcnt(0)
	s_barrier
	buffer_gl0_inv
	ds_write2_b64 v57, v[29:30], v[31:32] offset1:3
	v_add_f32_e32 v29, v35, v129
	v_fma_f32 v35, -0.5, v58, v35
	v_add_f32_e32 v31, v130, v118
	v_fmac_f32_e32 v27, 0xbf5db3d7, v51
	v_add_f32_e32 v30, v36, v130
	v_sub_f32_e32 v51, v129, v119
	v_fmac_f32_e32 v28, 0x3f5db3d7, v52
	v_fmac_f32_e32 v36, -0.5, v31
	v_fmamk_f32 v31, v43, 0x3f5db3d7, v35
	v_fmac_f32_e32 v35, 0xbf5db3d7, v43
	v_add_f32_e32 v43, v37, v133
	v_fma_f32 v37, -0.5, v21, v37
	v_add_f32_e32 v21, v120, v131
	v_fmamk_f32 v32, v51, 0xbf5db3d7, v36
	v_fmac_f32_e32 v36, 0x3f5db3d7, v51
	v_add_f32_e32 v51, v38, v120
	v_sub_f32_e32 v58, v120, v131
	v_mul_u32_u24_e32 v52, 0x48, v19
	v_lshlrev_b32_sdwa v59, v115, v20 dst_sel:DWORD dst_unused:UNUSED_PAD src0_sel:DWORD src1_sel:WORD_0
	v_fmac_f32_e32 v38, -0.5, v21
	v_sub_f32_e32 v21, v133, v121
	v_add_f32_e32 v29, v29, v119
	v_add_f32_e32 v30, v30, v118
	;; [unrolled: 1-line block ×4, first 2 shown]
	v_add3_u32 v43, 0, v52, v59
	v_fmamk_f32 v51, v58, 0x3f5db3d7, v37
	v_fmamk_f32 v52, v21, 0xbf5db3d7, v38
	ds_write_b64 v57, v[27:28] offset:48
	ds_write2_b64 v14, v[29:30], v[31:32] offset1:3
	ds_write_b64 v14, v[35:36] offset:48
	v_add_f32_e32 v14, v134, v123
	v_fmac_f32_e32 v38, 0x3f5db3d7, v21
	v_sub_f32_e32 v21, v132, v122
	ds_write2_b64 v43, v[19:20], v[51:52] offset1:3
	v_add_f32_e32 v19, v39, v134
	v_fma_f32 v39, -0.5, v14, v39
	v_add_f32_e32 v14, v132, v122
	v_add_f32_e32 v20, v40, v132
	v_lshlrev_b32_sdwa v27, v115, v15 dst_sel:DWORD dst_unused:UNUSED_PAD src0_sel:DWORD src1_sel:WORD_0
	v_sub_f32_e32 v28, v134, v123
	v_fmac_f32_e32 v37, 0xbf5db3d7, v58
	v_fmac_f32_e32 v40, -0.5, v14
	v_add_f32_e32 v14, v19, v123
	v_add_f32_e32 v15, v20, v122
	v_add3_u32 v12, 0, v12, v27
	v_fmamk_f32 v19, v21, 0x3f5db3d7, v39
	v_fmamk_f32 v20, v28, 0xbf5db3d7, v40
	v_fmac_f32_e32 v39, 0xbf5db3d7, v21
	v_fmac_f32_e32 v40, 0x3f5db3d7, v28
	v_add_f32_e32 v27, v125, v126
	ds_write_b64 v43, v[37:38] offset:48
	ds_write2_b64 v12, v[14:15], v[19:20] offset1:3
	ds_write_b64 v12, v[39:40] offset:48
	v_add_f32_e32 v12, v127, v139
	v_add_f32_e32 v21, v33, v125
	v_fma_f32 v33, -0.5, v27, v33
	v_add_f32_e32 v27, v124, v135
	v_add_f32_e32 v14, v41, v127
	v_fma_f32 v41, -0.5, v12, v41
	v_add_f32_e32 v12, v136, v137
	v_add_f32_e32 v28, v34, v124
	v_sub_f32_e32 v29, v124, v135
	v_lshlrev_b32_sdwa v30, v115, v22 dst_sel:DWORD dst_unused:UNUSED_PAD src0_sel:DWORD src1_sel:WORD_0
	v_fmac_f32_e32 v34, -0.5, v27
	v_sub_f32_e32 v31, v125, v126
	v_add_f32_e32 v15, v42, v136
	v_sub_f32_e32 v19, v136, v137
	v_fmac_f32_e32 v42, -0.5, v12
	v_sub_f32_e32 v12, v127, v139
	v_add_f32_e32 v21, v21, v126
	v_add_f32_e32 v22, v28, v135
	v_add3_u32 v30, 0, v18, v30
	v_fmamk_f32 v27, v29, 0x3f5db3d7, v33
	v_fmamk_f32 v28, v31, 0xbf5db3d7, v34
	v_fmac_f32_e32 v33, 0xbf5db3d7, v29
	v_fmac_f32_e32 v34, 0x3f5db3d7, v31
	v_add_f32_e32 v14, v14, v139
	v_add_f32_e32 v15, v15, v137
	v_fmamk_f32 v17, v19, 0x3f5db3d7, v41
	v_fmamk_f32 v18, v12, 0xbf5db3d7, v42
	ds_write2_b64 v30, v[21:22], v[27:28] offset1:3
	v_fmac_f32_e32 v41, 0xbf5db3d7, v19
	v_fmac_f32_e32 v42, 0x3f5db3d7, v12
	v_add_f32_e32 v12, v84, v85
	ds_write_b64 v30, v[33:34] offset:48
	ds_write2_b64 v9, v[14:15], v[17:18] offset1:3
	v_add_f32_e32 v14, v49, v84
	v_add_f32_e32 v15, v128, v138
	ds_write_b64 v9, v[41:42] offset:48
	v_fma_f32 v49, -0.5, v12, v49
	v_add_f32_e32 v9, v50, v128
	v_add_f32_e32 v12, v14, v85
	v_mul_u32_u24_e32 v14, 0x48, v13
	v_sub_f32_e32 v17, v128, v138
	v_fmac_f32_e32 v50, -0.5, v15
	v_add_f32_e32 v13, v9, v138
	v_sub_f32_e32 v18, v84, v85
	v_add3_u32 v9, 0, v14, v16
	v_add_f32_e32 v16, v86, v79
	v_fmamk_f32 v14, v17, 0x3f5db3d7, v49
	v_fmac_f32_e32 v49, 0xbf5db3d7, v17
	v_add_f32_e32 v17, v47, v86
	v_fmamk_f32 v15, v18, 0xbf5db3d7, v50
	v_fma_f32 v47, -0.5, v16, v47
	v_add_f32_e32 v16, v54, v56
	v_fmac_f32_e32 v50, 0x3f5db3d7, v18
	v_add_f32_e32 v18, v48, v54
	v_sub_f32_e32 v19, v54, v56
	v_mul_u32_u24_e32 v20, 0x48, v7
	v_lshlrev_b32_sdwa v21, v115, v8 dst_sel:DWORD dst_unused:UNUSED_PAD src0_sel:DWORD src1_sel:WORD_0
	v_fmac_f32_e32 v48, -0.5, v16
	v_sub_f32_e32 v22, v86, v79
	ds_write2_b64 v9, v[12:13], v[14:15] offset1:3
	v_add_f32_e32 v12, v55, v76
	v_add_f32_e32 v7, v17, v79
	;; [unrolled: 1-line block ×3, first 2 shown]
	v_add3_u32 v18, 0, v20, v21
	v_fmamk_f32 v16, v19, 0x3f5db3d7, v47
	v_fmamk_f32 v17, v22, 0xbf5db3d7, v48
	v_fmac_f32_e32 v47, 0xbf5db3d7, v19
	v_fmac_f32_e32 v48, 0x3f5db3d7, v22
	ds_write_b64 v9, v[49:50] offset:48
	ds_write2_b64 v18, v[7:8], v[16:17] offset1:3
	ds_write_b64 v18, v[47:48] offset:48
	v_add_f32_e32 v7, v2, v55
	v_fma_f32 v2, -0.5, v12, v2
	v_add_f32_e32 v8, v53, v77
	v_add_f32_e32 v9, v3, v53
	v_sub_f32_e32 v12, v53, v77
	v_sub_f32_e32 v13, v55, v76
	v_add3_u32 v14, 0, v10, v11
	v_fmac_f32_e32 v3, -0.5, v8
	v_add_f32_e32 v8, v9, v77
	v_fmamk_f32 v9, v12, 0x3f5db3d7, v2
	v_fmac_f32_e32 v2, 0xbf5db3d7, v12
	v_add_f32_e32 v11, v23, v25
	v_add_f32_e32 v12, v0, v23
	;; [unrolled: 1-line block ×3, first 2 shown]
	v_fmamk_f32 v10, v13, 0xbf5db3d7, v3
	v_fmac_f32_e32 v3, 0x3f5db3d7, v13
	v_fma_f32 v0, -0.5, v11, v0
	v_add_f32_e32 v11, v12, v25
	v_add_f32_e32 v12, v15, v26
	;; [unrolled: 1-line block ×3, first 2 shown]
	v_mov_b32_e32 v15, 0xe38f
	v_mul_lo_u16 v16, v116, 57
	v_mov_b32_e32 v20, 9
	v_add_f32_e32 v7, v7, v76
	v_fmac_f32_e32 v1, -0.5, v13
	v_mul_u32_u24_sdwa v13, v75, v15 dst_sel:DWORD dst_unused:UNUSED_PAD src0_sel:WORD_0 src1_sel:DWORD
	v_lshrrev_b16 v120, 9, v16
	v_sub_f32_e32 v16, v24, v26
	v_sub_f32_e32 v15, v23, v25
	v_add3_u32 v18, 0, v6, v5
	v_lshrrev_b32_e32 v117, 19, v13
	v_mul_lo_u16 v17, v120, 9
	v_fmamk_f32 v5, v16, 0x3f5db3d7, v0
	v_fmamk_f32 v6, v15, 0xbf5db3d7, v1
	v_fmac_f32_e32 v0, 0xbf5db3d7, v16
	v_mul_lo_u16 v13, v117, 9
	v_sub_nc_u16 v121, v64, v17
	v_fmac_f32_e32 v1, 0x3f5db3d7, v15
	ds_write2_b64 v14, v[7:8], v[9:10] offset1:3
	ds_write_b64 v14, v[2:3] offset:48
	v_lshrrev_b16 v126, 9, v4
	v_sub_nc_u16 v118, v75, v13
	v_mul_u32_u24_sdwa v15, v121, v20 dst_sel:DWORD dst_unused:UNUSED_PAD src0_sel:BYTE_0 src1_sel:DWORD
	ds_write_b64 v18, v[0:1] offset:48
	ds_write2_b64 v18, v[11:12], v[5:6] offset1:3
	s_waitcnt lgkmcnt(0)
	v_mul_u32_u24_sdwa v0, v118, v20 dst_sel:DWORD dst_unused:UNUSED_PAD src0_sel:WORD_0 src1_sel:DWORD
	v_lshlrev_b32_e32 v47, 3, v15
	s_barrier
	buffer_gl0_inv
	v_mul_lo_u16 v1, v126, 9
	v_lshlrev_b32_e32 v52, 3, v0
	global_load_dwordx4 v[48:51], v47, s[12:13] offset:48
	v_sub_nc_u16 v127, v60, v1
	global_load_dwordx4 v[16:19], v52, s[12:13] offset:48
	v_mul_u32_u24_sdwa v0, v127, v20 dst_sel:DWORD dst_unused:UNUSED_PAD src0_sel:BYTE_0 src1_sel:DWORD
	v_lshlrev_b32_e32 v53, 3, v0
	s_clause 0xc
	global_load_dwordx4 v[4:7], v53, s[12:13] offset:48
	global_load_dwordx4 v[0:3], v53, s[12:13] offset:64
	global_load_dwordx4 v[8:11], v47, s[12:13] offset:64
	global_load_dwordx4 v[12:15], v52, s[12:13] offset:64
	global_load_dwordx4 v[20:23], v53, s[12:13] offset:80
	global_load_dwordx4 v[24:27], v47, s[12:13] offset:80
	global_load_dwordx4 v[28:31], v52, s[12:13] offset:80
	global_load_dwordx4 v[32:35], v53, s[12:13] offset:96
	global_load_dwordx4 v[36:39], v47, s[12:13] offset:96
	global_load_dwordx4 v[40:43], v52, s[12:13] offset:96
	global_load_dwordx2 v[78:79], v53, s[12:13] offset:112
	global_load_dwordx2 v[80:81], v47, s[12:13] offset:112
	;; [unrolled: 1-line block ×3, first 2 shown]
	v_add_nc_u32_e32 v47, 0x1400, v88
	ds_read2_b64 v[129:132], v44 offset0:48 offset1:156
	ds_read2_b64 v[56:59], v47 offset0:116 offset1:224
	ds_read_b64 v[84:85], v46
	ds_read_b64 v[86:87], v94
	ds_read2_b32 v[82:83], v45 offset1:1
	ds_read2_b64 v[52:55], v99 offset0:16 offset1:124
	ds_read2_b64 v[44:47], v100 offset0:56 offset1:164
	s_waitcnt vmcnt(14) lgkmcnt(6)
	v_mul_f32_e32 v123, v130, v49
	v_mul_f32_e32 v122, v129, v49
	s_waitcnt lgkmcnt(5)
	v_mul_f32_e32 v49, v57, v51
	v_mul_f32_e32 v124, v56, v51
	s_waitcnt vmcnt(13)
	v_mul_f32_e32 v51, v132, v17
	v_mul_f32_e32 v119, v131, v17
	;; [unrolled: 1-line block ×3, first 2 shown]
	v_fma_f32 v125, v56, v50, -v49
	v_mul_f32_e32 v56, v58, v19
	v_fma_f32 v123, v129, v48, -v123
	v_fmac_f32_e32 v122, v130, v48
	v_fmac_f32_e32 v124, v57, v50
	v_fma_f32 v19, v131, v16, -v51
	v_fmac_f32_e32 v119, v132, v16
	ds_read2_b64 v[48:51], v102 offset0:104 offset1:212
	ds_read_b64 v[16:17], v95
	s_waitcnt vmcnt(12) lgkmcnt(5)
	v_mul_f32_e32 v132, v5, v87
	v_fma_f32 v57, v58, v18, -v128
	v_fmac_f32_e32 v56, v59, v18
	v_mul_f32_e32 v18, v5, v86
	v_mul_f32_e32 v5, v7, v85
	;; [unrolled: 1-line block ×3, first 2 shown]
	ds_read2_b64 v[128:131], v106 offset0:24 offset1:132
	v_fma_f32 v59, v4, v86, -v132
	v_fmac_f32_e32 v18, v4, v87
	v_fma_f32 v136, v6, v84, -v5
	v_fmac_f32_e32 v58, v6, v85
	ds_read2_b64 v[84:87], v104 offset0:64 offset1:172
	s_waitcnt vmcnt(11) lgkmcnt(6)
	v_mul_f32_e32 v4, v83, v1
	v_mul_f32_e32 v137, v1, v82
	s_waitcnt lgkmcnt(5)
	v_mul_f32_e32 v1, v53, v3
	v_mul_f32_e32 v138, v52, v3
	s_waitcnt vmcnt(10)
	v_mul_f32_e32 v3, v55, v11
	v_fma_f32 v82, v0, v82, -v4
	v_fmac_f32_e32 v137, v83, v0
	v_mul_f32_e32 v83, v54, v11
	v_fma_f32 v52, v52, v2, -v1
	v_fmac_f32_e32 v138, v53, v2
	ds_read2_b64 v[132:135], v65 offset0:112 offset1:220
	s_waitcnt lgkmcnt(5)
	v_mul_f32_e32 v1, v45, v9
	v_fma_f32 v53, v54, v10, -v3
	v_mul_f32_e32 v54, v44, v9
	s_waitcnt vmcnt(9)
	v_mul_f32_e32 v2, v47, v13
	v_mul_f32_e32 v0, v46, v13
	s_waitcnt lgkmcnt(4)
	v_mul_f32_e32 v4, v49, v15
	v_mul_f32_e32 v3, v48, v15
	v_fmac_f32_e32 v83, v55, v10
	v_fma_f32 v55, v44, v8, -v1
	v_fmac_f32_e32 v54, v45, v8
	v_fma_f32 v1, v46, v12, -v2
	v_fmac_f32_e32 v0, v47, v12
	ds_read2_b64 v[44:47], v101 offset0:32 offset1:140
	s_waitcnt vmcnt(8)
	v_mul_f32_e32 v2, v51, v21
	v_mul_f32_e32 v139, v50, v21
	v_fma_f32 v4, v48, v14, -v4
	v_fmac_f32_e32 v3, v49, v14
	ds_read2_b64 v[11:14], v98 offset0:72 offset1:180
	s_waitcnt lgkmcnt(4)
	v_mul_f32_e32 v5, v129, v23
	v_mul_f32_e32 v49, v128, v23
	v_fma_f32 v48, v50, v20, -v2
	v_fmac_f32_e32 v139, v51, v20
	s_waitcnt vmcnt(7)
	v_mul_f32_e32 v2, v131, v27
	v_mul_f32_e32 v50, v130, v27
	s_waitcnt lgkmcnt(3)
	v_mul_f32_e32 v6, v85, v25
	v_fma_f32 v51, v128, v22, -v5
	v_fmac_f32_e32 v49, v129, v22
	v_mul_f32_e32 v128, v84, v25
	ds_read2_b64 v[20:23], v103 offset0:120 offset1:228
	v_fma_f32 v129, v130, v26, -v2
	v_fmac_f32_e32 v50, v131, v26
	v_fma_f32 v84, v84, v24, -v6
	v_fmac_f32_e32 v128, v85, v24
	ds_read2_b64 v[24:27], v105 offset0:80 offset1:188
	s_waitcnt vmcnt(6) lgkmcnt(4)
	v_mul_f32_e32 v6, v133, v31
	v_mul_f32_e32 v7, v132, v31
	s_waitcnt vmcnt(5)
	v_mul_f32_e32 v8, v135, v33
	v_mul_f32_e32 v5, v87, v29
	;; [unrolled: 1-line block ×3, first 2 shown]
	s_waitcnt lgkmcnt(3)
	v_mul_f32_e32 v9, v45, v35
	v_fma_f32 v10, v132, v30, -v6
	v_fmac_f32_e32 v7, v133, v30
	v_mul_f32_e32 v29, v44, v35
	s_waitcnt vmcnt(4)
	v_mul_f32_e32 v6, v47, v39
	v_mul_f32_e32 v39, v46, v39
	v_fma_f32 v30, v134, v32, -v8
	s_waitcnt lgkmcnt(2)
	v_mul_f32_e32 v8, v12, v37
	v_fma_f32 v5, v86, v28, -v5
	v_fmac_f32_e32 v2, v87, v28
	v_mul_f32_e32 v28, v134, v33
	v_fma_f32 v31, v44, v34, -v9
	v_fmac_f32_e32 v29, v45, v34
	v_fma_f32 v44, v46, v38, -v6
	v_fmac_f32_e32 v39, v47, v38
	v_mul_f32_e32 v38, v11, v37
	s_waitcnt vmcnt(3)
	v_mul_f32_e32 v9, v14, v41
	v_fma_f32 v45, v11, v36, -v8
	v_mul_f32_e32 v6, v13, v41
	s_waitcnt lgkmcnt(1)
	v_mul_f32_e32 v11, v21, v43
	v_fmac_f32_e32 v28, v135, v32
	v_fma_f32 v8, v13, v40, -v9
	s_waitcnt vmcnt(2)
	v_mul_f32_e32 v9, v23, v79
	v_fmac_f32_e32 v6, v14, v40
	v_fma_f32 v13, v20, v42, -v11
	s_waitcnt vmcnt(1) lgkmcnt(0)
	v_mul_f32_e32 v11, v25, v81
	s_waitcnt vmcnt(0)
	v_mul_f32_e32 v14, v27, v77
	v_mul_f32_e32 v32, v22, v79
	v_fma_f32 v33, v22, v78, -v9
	v_add_f32_e32 v15, v139, v28
	v_fma_f32 v41, v24, v80, -v11
	v_fma_f32 v11, v26, v76, -v14
	v_add_f32_e32 v14, v48, v30
	v_fmac_f32_e32 v38, v12, v36
	v_mul_f32_e32 v12, v20, v43
	v_fmac_f32_e32 v32, v23, v78
	v_mul_f32_e32 v9, v26, v77
	v_fma_f32 v34, -0.5, v15, v18
	v_sub_f32_e32 v26, v82, v33
	v_fma_f32 v35, -0.5, v14, v59
	ds_read_b64 v[14:15], v88
	v_fmac_f32_e32 v12, v21, v42
	v_sub_f32_e32 v21, v137, v139
	v_sub_f32_e32 v22, v32, v28
	;; [unrolled: 1-line block ×3, first 2 shown]
	v_fmamk_f32 v23, v26, 0xbf737871, v34
	v_sub_f32_e32 v37, v48, v30
	v_mul_f32_e32 v40, v24, v81
	v_sub_f32_e32 v20, v82, v48
	v_sub_f32_e32 v24, v33, v30
	v_add_f32_e32 v42, v21, v22
	v_fmamk_f32 v22, v36, 0x3f737871, v35
	v_sub_f32_e32 v43, v139, v28
	v_fmac_f32_e32 v23, 0xbf167918, v37
	v_add_f32_e32 v46, v20, v24
	ds_read_b64 v[20:21], v96
	v_fmac_f32_e32 v40, v25, v80
	v_fmac_f32_e32 v22, 0x3f167918, v43
	;; [unrolled: 1-line block ×4, first 2 shown]
	v_sub_f32_e32 v25, v136, v52
	v_sub_f32_e32 v24, v31, v51
	;; [unrolled: 1-line block ×4, first 2 shown]
	v_fmac_f32_e32 v22, 0x3e9e377a, v46
	v_mul_f32_e32 v76, 0x3f167918, v23
	s_waitcnt lgkmcnt(1)
	v_add_f32_e32 v77, v14, v136
	v_mov_b32_e32 v79, 0x2d0
	v_add_f32_e32 v78, v25, v24
	v_add_f32_e32 v47, v27, v47
	v_fmac_f32_e32 v76, 0x3f4f1bbd, v22
	v_add_f32_e32 v24, v77, v52
	v_mul_f32_e32 v77, 0xbf167918, v22
	v_mul_u32_u24_sdwa v22, v126, v79 dst_sel:DWORD dst_unused:UNUSED_PAD src0_sel:WORD_0 src1_sel:DWORD
	v_lshlrev_b32_sdwa v27, v115, v127 dst_sel:DWORD dst_unused:UNUSED_PAD src0_sel:DWORD src1_sel:BYTE_0
	v_add_f32_e32 v25, v52, v51
	v_add_f32_e32 v24, v24, v51
	v_sub_f32_e32 v130, v136, v31
	v_fmac_f32_e32 v77, 0x3f4f1bbd, v23
	v_add3_u32 v85, 0, v22, v27
	v_add_f32_e32 v22, v15, v58
	v_fma_f32 v80, -0.5, v25, v14
	v_add_f32_e32 v25, v138, v49
	v_add_f32_e32 v86, v24, v31
	v_sub_f32_e32 v27, v51, v31
	v_add_f32_e32 v22, v22, v138
	v_add_f32_e32 v31, v136, v31
	v_fma_f32 v127, -0.5, v25, v15
	v_sub_f32_e32 v25, v52, v136
	v_add_f32_e32 v23, v59, v82
	v_add_f32_e32 v22, v22, v49
	;; [unrolled: 1-line block ×3, first 2 shown]
	v_fma_f32 v14, -0.5, v31, v14
	v_sub_f32_e32 v81, v58, v29
	v_add_f32_e32 v23, v23, v48
	v_add_f32_e32 v31, v22, v29
	v_add_f32_e32 v22, v25, v27
	v_add_f32_e32 v25, v58, v29
	v_sub_f32_e32 v27, v49, v29
	v_sub_f32_e32 v29, v48, v82
	v_add_f32_e32 v48, v82, v33
	v_add_f32_e32 v24, v24, v139
	v_fmac_f32_e32 v15, -0.5, v25
	v_add_f32_e32 v25, v137, v32
	v_add_f32_e32 v23, v23, v30
	v_sub_f32_e32 v30, v30, v33
	v_fmac_f32_e32 v59, -0.5, v48
	v_add_f32_e32 v24, v24, v28
	v_fmac_f32_e32 v18, -0.5, v25
	v_sub_f32_e32 v131, v52, v51
	v_add_f32_e32 v29, v29, v30
	v_fmamk_f32 v30, v43, 0xbf737871, v59
	v_add_f32_e32 v52, v23, v33
	v_add_f32_e32 v133, v24, v32
	v_sub_f32_e32 v33, v139, v137
	v_sub_f32_e32 v28, v28, v32
	v_fmamk_f32 v32, v37, 0x3f737871, v18
	v_fmac_f32_e32 v59, 0x3f737871, v43
	v_fmac_f32_e32 v18, 0xbf737871, v37
	;; [unrolled: 1-line block ×5, first 2 shown]
	v_sub_f32_e32 v126, v138, v49
	v_sub_f32_e32 v24, v138, v58
	v_fmamk_f32 v49, v131, 0x3f737871, v15
	v_fmac_f32_e32 v15, 0xbf737871, v131
	v_add_f32_e32 v28, v33, v28
	v_fmac_f32_e32 v32, 0xbf167918, v26
	v_fmac_f32_e32 v59, 0xbf167918, v36
	;; [unrolled: 1-line block ×6, first 2 shown]
	v_fmamk_f32 v87, v81, 0x3f737871, v80
	v_fmamk_f32 v51, v130, 0xbf737871, v127
	;; [unrolled: 1-line block ×3, first 2 shown]
	v_fmac_f32_e32 v14, 0x3f737871, v126
	v_add_f32_e32 v27, v24, v27
	v_fmac_f32_e32 v49, 0xbf167918, v130
	v_fmac_f32_e32 v15, 0x3f167918, v130
	;; [unrolled: 1-line block ×5, first 2 shown]
	v_mul_f32_e32 v58, 0xbf737871, v30
	v_fmac_f32_e32 v80, 0xbf737871, v81
	v_fmac_f32_e32 v127, 0x3f737871, v130
	;; [unrolled: 1-line block ×9, first 2 shown]
	v_mul_f32_e32 v48, 0x3f737871, v32
	v_mul_f32_e32 v28, 0x3e9e377a, v59
	v_fmac_f32_e32 v15, 0x3e9e377a, v27
	v_mul_f32_e32 v27, 0x3e9e377a, v18
	v_fmac_f32_e32 v58, 0x3e9e377a, v32
	v_fmac_f32_e32 v80, 0xbf167918, v126
	;; [unrolled: 1-line block ×3, first 2 shown]
	v_mul_f32_e32 v32, 0x3f4f1bbd, v35
	v_mul_f32_e32 v33, 0x3f4f1bbd, v34
	v_fmac_f32_e32 v87, 0x3e9e377a, v78
	v_fmac_f32_e32 v51, 0x3e9e377a, v47
	;; [unrolled: 1-line block ×5, first 2 shown]
	v_fma_f32 v18, 0x3f737871, v18, -v28
	v_fma_f32 v59, 0xbf737871, v59, -v27
	v_fmac_f32_e32 v80, 0x3e9e377a, v78
	v_fmac_f32_e32 v127, 0x3e9e377a, v47
	v_fma_f32 v42, 0x3f167918, v34, -v32
	v_fma_f32 v43, 0xbf167918, v35, -v33
	v_add_f32_e32 v22, v86, v52
	v_add_f32_e32 v23, v31, v133
	;; [unrolled: 1-line block ×8, first 2 shown]
	v_sub_f32_e32 v30, v86, v52
	v_sub_f32_e32 v31, v31, v133
	v_add_f32_e32 v34, v80, v42
	v_add_f32_e32 v35, v127, v43
	v_sub_f32_e32 v32, v87, v76
	v_sub_f32_e32 v33, v51, v77
	;; [unrolled: 1-line block ×4, first 2 shown]
	s_waitcnt lgkmcnt(0)
	s_barrier
	buffer_gl0_inv
	ds_write2_b64 v85, v[22:23], v[24:25] offset1:9
	ds_write2_b64 v85, v[26:27], v[28:29] offset0:18 offset1:27
	ds_write2_b64 v85, v[34:35], v[30:31] offset0:36 offset1:45
	;; [unrolled: 1-line block ×3, first 2 shown]
	v_sub_f32_e32 v14, v14, v18
	v_add_f32_e32 v18, v128, v38
	v_add_f32_e32 v25, v84, v45
	v_sub_f32_e32 v28, v55, v41
	v_sub_f32_e32 v29, v54, v40
	;; [unrolled: 1-line block ×3, first 2 shown]
	v_fma_f32 v18, -0.5, v18, v122
	v_fma_f32 v31, -0.5, v25, v123
	v_sub_f32_e32 v27, v41, v45
	v_sub_f32_e32 v25, v54, v128
	;; [unrolled: 1-line block ×3, first 2 shown]
	v_fmamk_f32 v32, v28, 0xbf737871, v18
	v_sub_f32_e32 v33, v84, v45
	v_fmamk_f32 v34, v29, 0x3f737871, v31
	v_sub_f32_e32 v35, v128, v38
	v_sub_f32_e32 v24, v125, v53
	;; [unrolled: 1-line block ×3, first 2 shown]
	v_add_f32_e32 v37, v26, v27
	v_add_f32_e32 v30, v25, v30
	v_fmac_f32_e32 v32, 0xbf167918, v33
	v_fmac_f32_e32 v34, 0x3f167918, v35
	v_sub_f32_e32 v25, v124, v83
	v_sub_f32_e32 v26, v39, v50
	v_add_f32_e32 v27, v20, v125
	v_sub_f32_e32 v22, v80, v42
	v_fmac_f32_e32 v32, 0x3e9e377a, v30
	v_fmac_f32_e32 v34, 0x3e9e377a, v37
	v_add_f32_e32 v36, v24, v36
	v_add_f32_e32 v42, v25, v26
	;; [unrolled: 1-line block ×3, first 2 shown]
	v_mul_u32_u24_sdwa v25, v120, v79 dst_sel:DWORD dst_unused:UNUSED_PAD src0_sel:WORD_0 src1_sel:DWORD
	v_lshlrev_b32_sdwa v26, v115, v121 dst_sel:DWORD dst_unused:UNUSED_PAD src0_sel:DWORD src1_sel:BYTE_0
	v_sub_f32_e32 v23, v127, v43
	v_mul_f32_e32 v43, 0x3f167918, v32
	v_mul_f32_e32 v46, 0xbf167918, v34
	v_add_f32_e32 v24, v24, v129
	v_add_f32_e32 v27, v21, v124
	v_add3_u32 v47, 0, v25, v26
	v_add_f32_e32 v26, v125, v44
	v_fmac_f32_e32 v43, 0x3f4f1bbd, v34
	v_fmac_f32_e32 v46, 0x3f4f1bbd, v32
	v_add_f32_e32 v32, v24, v44
	v_add_f32_e32 v25, v27, v83
	v_sub_f32_e32 v34, v125, v44
	v_sub_f32_e32 v27, v53, v125
	;; [unrolled: 1-line block ×4, first 2 shown]
	v_fma_f32 v51, -0.5, v26, v20
	v_add_f32_e32 v24, v53, v129
	v_sub_f32_e32 v48, v124, v39
	v_sub_f32_e32 v52, v53, v129
	v_add_f32_e32 v26, v27, v44
	v_fmamk_f32 v44, v49, 0xbf737871, v51
	v_fmac_f32_e32 v51, 0x3f737871, v49
	v_add_f32_e32 v53, v123, v55
	v_add_f32_e32 v25, v25, v50
	v_add_f32_e32 v27, v83, v50
	v_fmac_f32_e32 v44, 0x3f167918, v48
	v_fmac_f32_e32 v51, 0xbf167918, v48
	v_add_f32_e32 v53, v53, v84
	v_sub_f32_e32 v15, v15, v59
	v_add_f32_e32 v58, v25, v39
	v_sub_f32_e32 v25, v83, v124
	;; [unrolled: 2-line block ×3, first 2 shown]
	v_fmac_f32_e32 v44, 0x3e9e377a, v26
	v_fmac_f32_e32 v51, 0x3e9e377a, v26
	v_add_f32_e32 v26, v53, v45
	v_fma_f32 v20, -0.5, v24, v20
	v_fma_f32 v50, -0.5, v27, v21
	v_add_f32_e32 v24, v122, v54
	v_add_f32_e32 v27, v54, v40
	;; [unrolled: 1-line block ×4, first 2 shown]
	v_sub_f32_e32 v25, v84, v55
	v_add_f32_e32 v24, v24, v128
	v_add_f32_e32 v55, v55, v41
	v_sub_f32_e32 v41, v45, v41
	v_fmac_f32_e32 v122, -0.5, v27
	v_sub_f32_e32 v27, v128, v54
	v_add_f32_e32 v24, v24, v38
	v_sub_f32_e32 v38, v38, v40
	v_fmac_f32_e32 v123, -0.5, v55
	v_add_f32_e32 v25, v25, v41
	v_fmamk_f32 v41, v33, 0x3f737871, v122
	v_fmac_f32_e32 v122, 0xbf737871, v33
	v_add_f32_e32 v27, v27, v38
	v_fmamk_f32 v38, v35, 0xbf737871, v123
	v_fmac_f32_e32 v123, 0x3f737871, v35
	v_fmac_f32_e32 v41, 0xbf167918, v28
	v_fmac_f32_e32 v31, 0xbf737871, v29
	v_fmac_f32_e32 v18, 0x3f737871, v28
	v_fmac_f32_e32 v21, -0.5, v59
	v_fmac_f32_e32 v38, 0x3f167918, v29
	v_fmac_f32_e32 v123, 0xbf167918, v29
	;; [unrolled: 1-line block ×6, first 2 shown]
	v_fmamk_f32 v39, v48, 0x3f737871, v20
	v_fmamk_f32 v59, v34, 0xbf737871, v50
	v_add_f32_e32 v45, v24, v40
	v_fmamk_f32 v40, v52, 0x3f737871, v21
	v_fmac_f32_e32 v21, 0xbf737871, v52
	v_fmac_f32_e32 v38, 0x3e9e377a, v25
	;; [unrolled: 1-line block ×3, first 2 shown]
	v_mul_f32_e32 v54, 0x3f737871, v41
	v_fmac_f32_e32 v122, 0x3e9e377a, v27
	v_fmac_f32_e32 v20, 0xbf737871, v48
	;; [unrolled: 1-line block ×10, first 2 shown]
	v_mul_f32_e32 v55, 0xbf737871, v38
	v_mul_f32_e32 v38, 0x3e9e377a, v123
	;; [unrolled: 1-line block ×3, first 2 shown]
	v_fmac_f32_e32 v20, 0xbf167918, v49
	v_fmac_f32_e32 v50, 0x3f167918, v52
	v_mul_f32_e32 v33, 0x3f4f1bbd, v31
	v_mul_f32_e32 v34, 0x3f4f1bbd, v18
	v_fmac_f32_e32 v39, 0x3e9e377a, v36
	v_fmac_f32_e32 v59, 0x3e9e377a, v42
	;; [unrolled: 1-line block ×5, first 2 shown]
	v_fma_f32 v41, 0x3f737871, v122, -v38
	v_fma_f32 v76, 0xbf737871, v123, -v76
	v_fmac_f32_e32 v20, 0x3e9e377a, v36
	v_fmac_f32_e32 v50, 0x3e9e377a, v42
	v_fma_f32 v18, 0x3f167918, v18, -v33
	v_fma_f32 v42, 0xbf167918, v31, -v34
	v_add_f32_e32 v24, v32, v53
	v_add_f32_e32 v25, v58, v45
	;; [unrolled: 1-line block ×8, first 2 shown]
	v_sub_f32_e32 v32, v32, v53
	v_sub_f32_e32 v33, v58, v45
	v_add_f32_e32 v34, v20, v18
	v_add_f32_e32 v35, v50, v42
	v_sub_f32_e32 v36, v39, v43
	v_sub_f32_e32 v37, v59, v46
	;; [unrolled: 1-line block ×4, first 2 shown]
	ds_write2_b64 v85, v[14:15], v[22:23] offset0:72 offset1:81
	ds_write2_b64 v47, v[24:25], v[26:27] offset1:9
	ds_write2_b64 v47, v[28:29], v[30:31] offset0:18 offset1:27
	ds_write2_b64 v47, v[34:35], v[32:33] offset0:36 offset1:45
	;; [unrolled: 1-line block ×3, first 2 shown]
	v_sub_f32_e32 v15, v21, v76
	v_sub_f32_e32 v14, v51, v41
	v_add_f32_e32 v22, v2, v6
	v_sub_f32_e32 v20, v20, v18
	v_sub_f32_e32 v21, v50, v42
	v_add_f32_e32 v35, v16, v57
	v_add_f32_e32 v18, v5, v8
	v_sub_f32_e32 v23, v1, v5
	v_fma_f32 v22, -0.5, v22, v119
	v_sub_f32_e32 v24, v1, v11
	v_sub_f32_e32 v25, v0, v2
	;; [unrolled: 1-line block ×4, first 2 shown]
	ds_write2_b64 v47, v[14:15], v[20:21] offset0:72 offset1:81
	v_add_f32_e32 v14, v35, v4
	v_fma_f32 v18, -0.5, v18, v19
	v_sub_f32_e32 v26, v0, v9
	v_fmamk_f32 v28, v24, 0xbf737871, v22
	v_sub_f32_e32 v29, v5, v8
	v_add_f32_e32 v25, v25, v27
	v_sub_f32_e32 v27, v57, v4
	v_add_f32_e32 v23, v23, v30
	v_sub_f32_e32 v30, v13, v10
	v_sub_f32_e32 v33, v56, v3
	;; [unrolled: 1-line block ×3, first 2 shown]
	v_mul_u32_u24_e32 v15, 0x2d0, v117
	v_lshlrev_b32_sdwa v20, v115, v118 dst_sel:DWORD dst_unused:UNUSED_PAD src0_sel:DWORD src1_sel:WORD_0
	v_add_f32_e32 v14, v14, v10
	v_add_f32_e32 v21, v4, v10
	v_fmamk_f32 v31, v26, 0x3f737871, v18
	v_sub_f32_e32 v32, v2, v6
	v_fmac_f32_e32 v28, 0xbf167918, v29
	v_add_f32_e32 v27, v27, v30
	v_add_f32_e32 v30, v33, v34
	v_add3_u32 v33, 0, v15, v20
	v_add_f32_e32 v34, v14, v13
	v_fma_f32 v35, -0.5, v21, v16
	v_add_f32_e32 v14, v3, v7
	v_add_f32_e32 v20, v19, v1
	;; [unrolled: 1-line block ×3, first 2 shown]
	v_fmac_f32_e32 v31, 0x3f167918, v32
	v_fmac_f32_e32 v28, 0x3e9e377a, v25
	v_fma_f32 v37, -0.5, v14, v17
	v_add_f32_e32 v14, v20, v5
	v_add_f32_e32 v20, v21, v2
	v_fmac_f32_e32 v31, 0x3e9e377a, v23
	v_mul_f32_e32 v36, 0x3f167918, v28
	v_sub_f32_e32 v40, v3, v7
	v_sub_f32_e32 v38, v57, v13
	v_add_f32_e32 v20, v20, v6
	v_sub_f32_e32 v42, v4, v10
	v_fmac_f32_e32 v36, 0x3f4f1bbd, v31
	v_mul_f32_e32 v31, 0xbf167918, v31
	v_sub_f32_e32 v4, v4, v57
	v_add_f32_e32 v45, v20, v9
	v_add_f32_e32 v20, v57, v13
	v_sub_f32_e32 v10, v10, v13
	v_fmac_f32_e32 v31, 0x3f4f1bbd, v28
	v_add_f32_e32 v28, v17, v56
	v_add_f32_e32 v14, v14, v8
	v_fma_f32 v46, -0.5, v20, v16
	v_add_f32_e32 v4, v4, v10
	v_sub_f32_e32 v8, v8, v11
	v_add_f32_e32 v15, v28, v3
	v_sub_f32_e32 v28, v56, v12
	v_fmamk_f32 v13, v40, 0xbf737871, v46
	v_fmac_f32_e32 v46, 0x3f737871, v40
	v_add_f32_e32 v10, v56, v12
	v_fmac_f32_e32 v22, 0x3f737871, v24
	v_fmamk_f32 v39, v28, 0x3f737871, v35
	v_fmac_f32_e32 v13, 0x3f167918, v28
	v_fmac_f32_e32 v46, 0xbf167918, v28
	v_fmamk_f32 v41, v38, 0xbf737871, v37
	v_add_f32_e32 v15, v15, v7
	v_sub_f32_e32 v3, v3, v56
	v_fmac_f32_e32 v13, 0x3e9e377a, v4
	v_fmac_f32_e32 v46, 0x3e9e377a, v4
	v_sub_f32_e32 v4, v5, v1
	v_add_f32_e32 v5, v0, v9
	v_add_f32_e32 v1, v1, v11
	v_sub_f32_e32 v0, v2, v0
	v_sub_f32_e32 v2, v6, v9
	;; [unrolled: 1-line block ×3, first 2 shown]
	v_fmac_f32_e32 v119, -0.5, v5
	v_fmac_f32_e32 v19, -0.5, v1
	v_add_f32_e32 v1, v4, v8
	v_add_f32_e32 v0, v0, v2
	v_fmac_f32_e32 v17, -0.5, v10
	v_fmamk_f32 v4, v29, 0x3f737871, v119
	v_fmamk_f32 v5, v32, 0xbf737871, v19
	v_fmac_f32_e32 v19, 0x3f737871, v32
	v_fmac_f32_e32 v119, 0xbf737871, v29
	;; [unrolled: 1-line block ×11, first 2 shown]
	v_add_f32_e32 v3, v3, v7
	v_fmamk_f32 v7, v42, 0x3f737871, v17
	v_fmac_f32_e32 v17, 0xbf737871, v42
	v_fmac_f32_e32 v5, 0x3e9e377a, v1
	;; [unrolled: 1-line block ×5, first 2 shown]
	v_mul_f32_e32 v6, 0x3f737871, v4
	v_fmac_f32_e32 v22, 0x3e9e377a, v25
	v_add_f32_e32 v43, v15, v12
	v_add_f32_e32 v44, v14, v11
	v_fmac_f32_e32 v39, 0x3e9e377a, v27
	v_fmac_f32_e32 v41, 0x3e9e377a, v30
	;; [unrolled: 1-line block ×4, first 2 shown]
	v_mul_f32_e32 v8, 0xbf737871, v5
	v_mul_f32_e32 v0, 0x3e9e377a, v19
	v_mul_f32_e32 v1, 0x3e9e377a, v119
	v_fmac_f32_e32 v35, 0xbf737871, v28
	v_fmac_f32_e32 v37, 0x3f737871, v38
	;; [unrolled: 1-line block ×4, first 2 shown]
	v_mul_f32_e32 v5, 0x3f4f1bbd, v22
	v_add_f32_e32 v14, v34, v44
	v_add_f32_e32 v15, v43, v45
	;; [unrolled: 1-line block ×4, first 2 shown]
	v_fmac_f32_e32 v7, 0x3e9e377a, v3
	v_fmac_f32_e32 v17, 0x3e9e377a, v3
	;; [unrolled: 1-line block ×3, first 2 shown]
	v_fma_f32 v10, 0x3f737871, v119, -v0
	v_fma_f32 v9, 0xbf737871, v19, -v1
	v_fmac_f32_e32 v35, 0xbf167918, v40
	v_fmac_f32_e32 v37, 0x3f167918, v42
	v_mul_f32_e32 v4, 0x3f4f1bbd, v18
	v_fma_f32 v12, 0xbf167918, v18, -v5
	v_add_nc_u32_e32 v5, 0xffffffa6, v60
	ds_write2_b64 v33, v[14:15], v[20:21] offset1:9
	v_add_f32_e32 v0, v13, v6
	v_add_f32_e32 v1, v7, v8
	;; [unrolled: 1-line block ×4, first 2 shown]
	v_fmac_f32_e32 v35, 0x3e9e377a, v27
	v_fmac_f32_e32 v37, 0x3e9e377a, v30
	v_fma_f32 v11, 0x3f167918, v22, -v4
	v_mul_lo_u16 v14, 0xb7, v116
	v_cndmask_b32_e64 v27, v5, v60, s0
	ds_write2_b64 v33, v[0:1], v[2:3] offset0:18 offset1:27
	v_sub_f32_e32 v0, v34, v44
	v_sub_f32_e32 v1, v43, v45
	v_add_f32_e32 v2, v35, v11
	v_add_f32_e32 v3, v37, v12
	v_lshrrev_b16 v25, 14, v14
	v_mov_b32_e32 v14, 0x2d83
	v_sub_f32_e32 v4, v39, v36
	v_sub_f32_e32 v5, v41, v31
	;; [unrolled: 1-line block ×5, first 2 shown]
	v_mul_i32_i24_e32 v15, 5, v27
	v_mov_b32_e32 v16, 0
	v_sub_f32_e32 v8, v46, v10
	v_sub_f32_e32 v10, v35, v11
	;; [unrolled: 1-line block ×3, first 2 shown]
	ds_write2_b64 v33, v[2:3], v[0:1] offset0:36 offset1:45
	ds_write2_b64 v33, v[4:5], v[6:7] offset0:54 offset1:63
	;; [unrolled: 1-line block ×3, first 2 shown]
	v_mul_lo_u16 v2, 0x5a, v25
	v_mul_u32_u24_sdwa v3, v75, v14 dst_sel:DWORD dst_unused:UNUSED_PAD src0_sel:WORD_0 src1_sel:DWORD
	v_lshlrev_b64 v[12:13], 3, v[15:16]
	v_mul_u32_u24_sdwa v4, v74, v14 dst_sel:DWORD dst_unused:UNUSED_PAD src0_sel:WORD_0 src1_sel:DWORD
	s_waitcnt lgkmcnt(0)
	v_sub_nc_u16 v28, v64, v2
	v_lshrrev_b32_e32 v24, 20, v3
	v_mov_b32_e32 v2, 5
	v_add_co_u32 v0, s0, s12, v12
	v_add_co_ci_u32_e64 v1, s0, s13, v13, s0
	v_mul_lo_u16 v3, 0x5a, v24
	v_mul_u32_u24_sdwa v5, v28, v2 dst_sel:DWORD dst_unused:UNUSED_PAD src0_sel:BYTE_0 src1_sel:DWORD
	v_lshrrev_b32_e32 v22, 20, v4
	s_barrier
	buffer_gl0_inv
	global_load_dwordx4 v[29:32], v[0:1], off offset:712
	v_sub_nc_u16 v26, v75, v3
	v_lshlrev_b32_e32 v3, 3, v5
	v_mul_lo_u16 v5, 0x5a, v22
	v_mul_u32_u24_sdwa v6, v73, v14 dst_sel:DWORD dst_unused:UNUSED_PAD src0_sel:WORD_0 src1_sel:DWORD
	v_cmp_lt_u32_e64 s0, 0x59, v60
	v_mul_u32_u24_sdwa v4, v26, v2 dst_sel:DWORD dst_unused:UNUSED_PAD src0_sel:WORD_0 src1_sel:DWORD
	global_load_dwordx4 v[33:36], v3, s[12:13] offset:712
	v_sub_nc_u16 v23, v74, v5
	v_lshrrev_b32_e32 v20, 20, v6
	v_lshlrev_b32_e32 v4, 3, v4
	v_mul_u32_u24_sdwa v5, v23, v2 dst_sel:DWORD dst_unused:UNUSED_PAD src0_sel:WORD_0 src1_sel:DWORD
	v_mul_lo_u16 v6, 0x5a, v20
	global_load_dwordx4 v[47:50], v4, s[12:13] offset:712
	v_lshlrev_b32_e32 v19, 3, v5
	v_sub_nc_u16 v21, v73, v6
	global_load_dwordx4 v[51:54], v19, s[12:13] offset:712
	v_mul_u32_u24_sdwa v2, v21, v2 dst_sel:DWORD dst_unused:UNUSED_PAD src0_sel:WORD_0 src1_sel:DWORD
	v_lshlrev_b32_e32 v37, 3, v2
	s_clause 0xa
	global_load_dwordx4 v[55:58], v37, s[12:13] offset:712
	global_load_dwordx2 v[124:125], v[0:1], off offset:728
	global_load_dwordx2 v[126:127], v3, s[12:13] offset:728
	global_load_dwordx2 v[17:18], v4, s[12:13] offset:728
	global_load_dwordx4 v[12:15], v[0:1], off offset:696
	global_load_dwordx4 v[8:11], v3, s[12:13] offset:696
	global_load_dwordx4 v[4:7], v4, s[12:13] offset:696
	;; [unrolled: 1-line block ×4, first 2 shown]
	global_load_dwordx2 v[128:129], v19, s[12:13] offset:728
	global_load_dwordx2 v[130:131], v37, s[12:13] offset:728
	v_add_nc_u32_e32 v19, 0x3000, v88
	ds_read2_b32 v[41:42], v19 offset0:168 offset1:169
	ds_read2_b64 v[37:40], v65 offset0:112 offset1:220
	ds_read2_b64 v[80:83], v104 offset0:64 offset1:172
	;; [unrolled: 1-line block ×5, first 2 shown]
	s_waitcnt vmcnt(14) lgkmcnt(5)
	v_mul_f32_e32 v19, v42, v30
	v_mul_f32_e32 v59, v30, v41
	s_waitcnt lgkmcnt(4)
	v_mul_f32_e32 v133, v37, v32
	v_fma_f32 v132, v29, v41, -v19
	v_mul_f32_e32 v19, v38, v32
	s_waitcnt vmcnt(13)
	v_mul_f32_e32 v30, v40, v36
	v_fmac_f32_e32 v59, v42, v29
	v_fmac_f32_e32 v133, v38, v31
	s_waitcnt lgkmcnt(3)
	v_mul_f32_e32 v44, v80, v34
	v_fma_f32 v134, v37, v31, -v19
	v_mul_f32_e32 v19, v81, v34
	v_mul_f32_e32 v43, v39, v36
	v_fma_f32 v46, v39, v35, -v30
	v_fmac_f32_e32 v44, v81, v33
	s_waitcnt vmcnt(12)
	v_mul_f32_e32 v29, v83, v48
	v_mul_f32_e32 v38, v82, v48
	v_fma_f32 v45, v80, v33, -v19
	s_waitcnt lgkmcnt(2)
	v_mul_f32_e32 v19, v85, v50
	v_mul_f32_e32 v37, v84, v50
	v_fma_f32 v39, v82, v47, -v29
	v_fmac_f32_e32 v38, v83, v47
	s_waitcnt vmcnt(11) lgkmcnt(1)
	v_mul_f32_e32 v29, v117, v52
	v_fma_f32 v42, v84, v49, -v19
	v_mul_f32_e32 v19, v87, v54
	ds_read2_b64 v[80:83], v103 offset0:120 offset1:228
	v_mul_f32_e32 v34, v116, v52
	v_fmac_f32_e32 v43, v40, v35
	v_mul_f32_e32 v33, v86, v54
	v_fmac_f32_e32 v37, v85, v49
	v_fma_f32 v36, v86, v53, -v19
	v_fma_f32 v35, v116, v51, -v29
	v_fmac_f32_e32 v34, v117, v51
	s_waitcnt vmcnt(10)
	v_mul_f32_e32 v19, v119, v56
	v_mul_f32_e32 v30, v118, v56
	ds_read_b64 v[116:117], v114
	ds_read2_b64 v[49:52], v100 offset0:56 offset1:164
	v_fmac_f32_e32 v33, v87, v53
	v_fma_f32 v31, v118, v55, -v19
	v_fmac_f32_e32 v30, v119, v55
	ds_read2_b64 v[53:56], v108 offset0:136 offset1:244
	s_waitcnt vmcnt(9) lgkmcnt(4)
	v_mul_f32_e32 v19, v123, v125
	v_mul_f32_e32 v32, v121, v58
	;; [unrolled: 1-line block ×3, first 2 shown]
	ds_read2_b64 v[84:87], v99 offset0:16 offset1:124
	s_waitcnt vmcnt(8) lgkmcnt(4)
	v_mul_f32_e32 v47, v80, v127
	v_fma_f32 v58, v122, v124, -v19
	v_mul_f32_e32 v19, v81, v127
	s_waitcnt vmcnt(7)
	v_mul_f32_e32 v41, v83, v18
	v_mul_f32_e32 v40, v82, v18
	v_fmac_f32_e32 v47, v81, v126
	v_fma_f32 v32, v120, v57, -v32
	v_fma_f32 v48, v80, v126, -v19
	ds_read_b64 v[18:19], v97
	v_fma_f32 v41, v82, v17, -v41
	s_waitcnt vmcnt(6) lgkmcnt(4)
	v_mul_f32_e32 v80, v13, v117
	v_mul_f32_e32 v81, v13, v116
	s_waitcnt lgkmcnt(3)
	v_mul_f32_e32 v13, v15, v50
	v_mul_f32_e32 v15, v15, v49
	v_fmac_f32_e32 v40, v83, v17
	v_fma_f32 v17, v12, v116, -v80
	v_fmac_f32_e32 v81, v12, v117
	v_fma_f32 v80, v14, v49, -v13
	v_fmac_f32_e32 v15, v14, v50
	s_waitcnt vmcnt(5)
	v_mul_f32_e32 v49, v52, v11
	v_mul_f32_e32 v82, v51, v11
	s_waitcnt lgkmcnt(2)
	v_mul_f32_e32 v50, v54, v9
	ds_read2_b64 v[11:14], v107 offset0:96 offset1:204
	v_mul_f32_e32 v83, v53, v9
	v_fma_f32 v116, v51, v10, -v49
	s_waitcnt vmcnt(4)
	v_mul_f32_e32 v9, v56, v5
	v_fma_f32 v53, v53, v8, -v50
	ds_read_b64 v[49:50], v88 offset:12096
	v_fmac_f32_e32 v82, v52, v10
	v_fmac_f32_e32 v83, v54, v8
	v_mul_f32_e32 v54, v55, v5
	v_fma_f32 v55, v55, v4, -v9
	s_waitcnt lgkmcnt(3)
	v_mul_f32_e32 v5, v85, v7
	v_mul_f32_e32 v117, v84, v7
	ds_read2_b64 v[7:10], v105 offset0:80 offset1:188
	s_waitcnt vmcnt(3)
	v_mul_f32_e32 v51, v87, v3
	v_mul_f32_e32 v118, v86, v3
	v_fmac_f32_e32 v54, v56, v4
	v_fma_f32 v56, v84, v6, -v5
	v_fmac_f32_e32 v117, v85, v6
	v_fma_f32 v84, v86, v2, -v51
	v_fmac_f32_e32 v118, v87, v2
	s_waitcnt lgkmcnt(2)
	v_mul_f32_e32 v51, v12, v1
	v_mul_f32_e32 v85, v11, v1
	ds_read_b64 v[1:2], v95
	ds_read_b64 v[3:4], v96
	;; [unrolled: 1-line block ×3, first 2 shown]
	v_fmac_f32_e32 v29, v121, v57
	v_mul_f32_e32 v57, v122, v125
	s_waitcnt vmcnt(2)
	v_mul_f32_e32 v52, v14, v77
	v_fma_f32 v86, v11, v0, -v51
	v_mul_f32_e32 v77, v13, v77
	s_waitcnt lgkmcnt(4)
	v_mul_f32_e32 v11, v50, v79
	v_mul_f32_e32 v79, v49, v79
	v_fmac_f32_e32 v57, v123, v124
	v_fmac_f32_e32 v85, v12, v0
	v_fma_f32 v87, v13, v76, -v52
	v_fmac_f32_e32 v77, v14, v76
	v_fma_f32 v76, v49, v78, -v11
	s_waitcnt vmcnt(1) lgkmcnt(3)
	v_mul_f32_e32 v0, v8, v129
	v_fmac_f32_e32 v79, v50, v78
	s_waitcnt vmcnt(0)
	v_mul_f32_e32 v78, v9, v131
	v_mul_f32_e32 v119, v7, v129
	;; [unrolled: 1-line block ×3, first 2 shown]
	v_fma_f32 v120, v7, v128, -v0
	v_add_f32_e32 v7, v15, v133
	v_fmac_f32_e32 v78, v10, v130
	v_add_f32_e32 v10, v59, v57
	v_add_f32_e32 v0, v80, v134
	v_fma_f32 v121, v9, v130, -v11
	s_waitcnt lgkmcnt(0)
	v_add_f32_e32 v9, v6, v15
	v_fmac_f32_e32 v6, -0.5, v7
	v_add_f32_e32 v7, v132, v58
	v_add_f32_e32 v12, v81, v59
	v_fmac_f32_e32 v81, -0.5, v10
	v_sub_f32_e32 v10, v132, v58
	v_fmac_f32_e32 v119, v8, v128
	v_add_f32_e32 v8, v5, v80
	v_fma_f32 v0, -0.5, v0, v5
	v_sub_f32_e32 v5, v15, v133
	v_add_f32_e32 v11, v17, v132
	v_fmac_f32_e32 v17, -0.5, v7
	v_sub_f32_e32 v7, v59, v57
	v_fmamk_f32 v14, v10, 0xbf5db3d7, v81
	v_fmac_f32_e32 v81, 0x3f5db3d7, v10
	v_add_f32_e32 v13, v8, v134
	v_sub_f32_e32 v8, v80, v134
	v_fmamk_f32 v15, v5, 0x3f5db3d7, v0
	v_fmac_f32_e32 v0, 0xbf5db3d7, v5
	v_fmamk_f32 v5, v7, 0x3f5db3d7, v17
	v_fmac_f32_e32 v17, 0xbf5db3d7, v7
	v_mul_f32_e32 v59, -0.5, v81
	v_fmamk_f32 v52, v8, 0xbf5db3d7, v6
	v_fmac_f32_e32 v6, 0x3f5db3d7, v8
	v_lshlrev_b32_e32 v7, 3, v27
	v_mul_f32_e32 v51, -0.5, v17
	v_cndmask_b32_e64 v8, 0, 0x10e0, s0
	v_fmac_f32_e32 v59, 0xbf5db3d7, v17
	v_add_f32_e32 v17, v11, v58
	v_mul_f32_e32 v58, 0x3f5db3d7, v14
	v_mul_f32_e32 v80, 0xbf5db3d7, v5
	v_add_f32_e32 v49, v9, v133
	v_fmac_f32_e32 v51, 0x3f5db3d7, v81
	v_add_f32_e32 v27, v12, v57
	v_add3_u32 v57, 0, v8, v7
	v_fmac_f32_e32 v58, 0.5, v5
	v_fmac_f32_e32 v80, 0.5, v14
	v_add_f32_e32 v7, v0, v51
	v_add_f32_e32 v8, v6, v59
	v_sub_f32_e32 v9, v13, v17
	v_sub_f32_e32 v10, v49, v27
	v_add_nc_u32_e32 v81, 0x400, v57
	v_add_f32_e32 v50, v52, v80
	v_sub_f32_e32 v6, v6, v59
	v_sub_f32_e32 v5, v0, v51
	;; [unrolled: 1-line block ×4, first 2 shown]
	v_add_nc_u32_e32 v0, 0x800, v57
	v_add_f32_e32 v13, v13, v17
	v_add_f32_e32 v14, v49, v27
	;; [unrolled: 1-line block ×3, first 2 shown]
	ds_read_b64 v[11:12], v94
	s_waitcnt lgkmcnt(0)
	s_barrier
	buffer_gl0_inv
	ds_write2_b64 v81, v[7:8], v[9:10] offset0:52 offset1:142
	ds_write2_b64 v57, v[13:14], v[49:50] offset1:90
	ds_write2_b64 v0, v[51:52], v[5:6] offset0:104 offset1:194
	v_add_f32_e32 v0, v82, v43
	v_add_f32_e32 v5, v3, v116
	v_add_f32_e32 v6, v4, v82
	v_add_f32_e32 v9, v44, v47
	v_add_f32_e32 v10, v53, v45
	v_fmac_f32_e32 v4, -0.5, v0
	v_add_f32_e32 v0, v5, v46
	v_add_f32_e32 v5, v45, v48
	v_add_f32_e32 v13, v83, v44
	v_fmac_f32_e32 v83, -0.5, v9
	v_sub_f32_e32 v9, v45, v48
	v_add_f32_e32 v7, v116, v46
	v_fmac_f32_e32 v53, -0.5, v5
	v_sub_f32_e32 v5, v44, v47
	v_sub_f32_e32 v8, v116, v46
	v_fmamk_f32 v27, v9, 0xbf5db3d7, v83
	v_fmac_f32_e32 v83, 0x3f5db3d7, v9
	v_fma_f32 v3, -0.5, v7, v3
	v_fmamk_f32 v17, v5, 0x3f5db3d7, v53
	v_fmac_f32_e32 v53, 0xbf5db3d7, v5
	v_mov_b32_e32 v5, 0x10e0
	v_sub_f32_e32 v7, v82, v43
	v_add_f32_e32 v14, v6, v43
	v_mul_f32_e32 v45, -0.5, v83
	v_mul_f32_e32 v44, -0.5, v53
	v_mul_u32_u24_sdwa v5, v25, v5 dst_sel:DWORD dst_unused:UNUSED_PAD src0_sel:WORD_0 src1_sel:DWORD
	v_lshlrev_b32_sdwa v6, v115, v28 dst_sel:DWORD dst_unused:UNUSED_PAD src0_sel:DWORD src1_sel:BYTE_0
	v_mul_f32_e32 v28, 0x3f5db3d7, v27
	v_mul_f32_e32 v46, 0xbf5db3d7, v17
	v_fmamk_f32 v15, v7, 0x3f5db3d7, v3
	v_fmac_f32_e32 v3, 0xbf5db3d7, v7
	v_fmamk_f32 v43, v8, 0xbf5db3d7, v4
	v_fmac_f32_e32 v4, 0x3f5db3d7, v8
	v_fmac_f32_e32 v44, 0x3f5db3d7, v83
	v_add_f32_e32 v9, v10, v48
	v_add_f32_e32 v10, v13, v47
	v_fmac_f32_e32 v45, 0xbf5db3d7, v53
	v_add3_u32 v25, 0, v5, v6
	v_fmac_f32_e32 v28, 0.5, v17
	v_fmac_f32_e32 v46, 0.5, v27
	v_add_f32_e32 v5, v3, v44
	v_add_f32_e32 v6, v4, v45
	v_sub_f32_e32 v7, v0, v9
	v_sub_f32_e32 v8, v14, v10
	v_add_nc_u32_e32 v17, 0x400, v25
	v_add_f32_e32 v9, v0, v9
	v_add_f32_e32 v13, v15, v28
	v_sub_f32_e32 v4, v4, v45
	v_sub_f32_e32 v3, v3, v44
	;; [unrolled: 1-line block ×4, first 2 shown]
	v_add_nc_u32_e32 v0, 0x800, v25
	v_add_f32_e32 v10, v14, v10
	v_add_f32_e32 v14, v43, v46
	ds_write2_b64 v17, v[5:6], v[7:8] offset0:52 offset1:142
	ds_write2_b64 v25, v[9:10], v[13:14] offset1:90
	v_add_f32_e32 v5, v117, v37
	v_add_f32_e32 v6, v1, v56
	ds_write2_b64 v0, v[27:28], v[3:4] offset0:104 offset1:194
	v_add_f32_e32 v3, v56, v42
	v_add_f32_e32 v0, v2, v117
	v_fmac_f32_e32 v2, -0.5, v5
	v_add_f32_e32 v5, v6, v42
	v_add_f32_e32 v6, v39, v41
	v_fma_f32 v9, -0.5, v3, v1
	v_add_f32_e32 v3, v38, v40
	v_add_f32_e32 v7, v55, v39
	;; [unrolled: 1-line block ×3, first 2 shown]
	v_fmac_f32_e32 v55, -0.5, v6
	v_sub_f32_e32 v6, v38, v40
	v_fmac_f32_e32 v54, -0.5, v3
	v_sub_f32_e32 v3, v39, v41
	v_sub_f32_e32 v1, v117, v37
	;; [unrolled: 1-line block ×3, first 2 shown]
	v_fmamk_f32 v10, v6, 0x3f5db3d7, v55
	v_fmac_f32_e32 v55, 0xbf5db3d7, v6
	v_fmamk_f32 v6, v3, 0xbf5db3d7, v54
	v_fmac_f32_e32 v54, 0x3f5db3d7, v3
	;; [unrolled: 2-line block ×3, first 2 shown]
	v_add_f32_e32 v14, v0, v37
	v_mul_f32_e32 v17, -0.5, v55
	v_mul_f32_e32 v25, -0.5, v54
	v_mul_u32_u24_e32 v0, 0x10e0, v24
	v_lshlrev_b32_sdwa v1, v115, v26 dst_sel:DWORD dst_unused:UNUSED_PAD src0_sel:DWORD src1_sel:WORD_0
	v_mul_f32_e32 v26, 0x3f5db3d7, v6
	v_mul_f32_e32 v27, 0xbf5db3d7, v10
	v_fmamk_f32 v15, v4, 0xbf5db3d7, v2
	v_fmac_f32_e32 v2, 0x3f5db3d7, v4
	v_fmac_f32_e32 v17, 0x3f5db3d7, v54
	v_add_f32_e32 v7, v7, v41
	v_add_f32_e32 v8, v8, v40
	v_fmac_f32_e32 v25, 0xbf5db3d7, v55
	v_add3_u32 v24, 0, v0, v1
	v_fmac_f32_e32 v26, 0.5, v10
	v_fmac_f32_e32 v27, 0.5, v6
	v_add_f32_e32 v0, v9, v17
	v_add_f32_e32 v1, v2, v25
	v_sub_f32_e32 v3, v5, v7
	v_sub_f32_e32 v4, v14, v8
	v_add_nc_u32_e32 v28, 0x400, v24
	v_add_f32_e32 v5, v5, v7
	v_add_f32_e32 v6, v14, v8
	;; [unrolled: 1-line block ×4, first 2 shown]
	ds_write2_b64 v28, v[0:1], v[3:4] offset0:52 offset1:142
	ds_write2_b64 v24, v[5:6], v[7:8] offset1:90
	v_add_f32_e32 v1, v11, v84
	v_add_f32_e32 v5, v34, v119
	v_sub_f32_e32 v10, v2, v25
	v_sub_f32_e32 v9, v9, v17
	;; [unrolled: 1-line block ×3, first 2 shown]
	v_add_f32_e32 v4, v1, v36
	v_add_f32_e32 v1, v35, v120
	v_sub_f32_e32 v14, v15, v27
	v_add_nc_u32_e32 v2, 0x800, v24
	v_add_f32_e32 v0, v118, v33
	v_add_f32_e32 v3, v84, v36
	;; [unrolled: 1-line block ×3, first 2 shown]
	v_fmac_f32_e32 v86, -0.5, v1
	v_sub_f32_e32 v1, v34, v119
	v_add_f32_e32 v7, v85, v34
	v_fmac_f32_e32 v85, -0.5, v5
	v_sub_f32_e32 v5, v35, v120
	ds_write2_b64 v2, v[13:14], v[9:10] offset0:104 offset1:194
	v_add_f32_e32 v2, v12, v118
	v_fmac_f32_e32 v12, -0.5, v0
	v_sub_f32_e32 v0, v84, v36
	v_fma_f32 v8, -0.5, v3, v11
	v_fmamk_f32 v9, v1, 0x3f5db3d7, v86
	v_fmac_f32_e32 v86, 0xbf5db3d7, v1
	v_fmamk_f32 v11, v5, 0xbf5db3d7, v85
	v_fmac_f32_e32 v85, 0x3f5db3d7, v5
	v_sub_f32_e32 v3, v118, v33
	v_fmamk_f32 v13, v0, 0xbf5db3d7, v12
	v_mul_f32_e32 v14, -0.5, v86
	v_fmac_f32_e32 v12, 0x3f5db3d7, v0
	v_mul_f32_e32 v15, -0.5, v85
	v_mul_u32_u24_e32 v0, 0x10e0, v22
	v_lshlrev_b32_sdwa v1, v115, v23 dst_sel:DWORD dst_unused:UNUSED_PAD src0_sel:DWORD src1_sel:WORD_0
	v_mul_f32_e32 v22, 0x3f5db3d7, v11
	v_mul_f32_e32 v23, 0xbf5db3d7, v9
	v_fmamk_f32 v10, v3, 0x3f5db3d7, v8
	v_fmac_f32_e32 v8, 0xbf5db3d7, v3
	v_add_f32_e32 v5, v2, v33
	v_fmac_f32_e32 v14, 0x3f5db3d7, v85
	v_add_f32_e32 v6, v6, v120
	v_add_f32_e32 v7, v7, v119
	v_fmac_f32_e32 v15, 0xbf5db3d7, v86
	v_add3_u32 v17, 0, v0, v1
	v_fmac_f32_e32 v22, 0.5, v9
	v_fmac_f32_e32 v23, 0.5, v11
	v_add_f32_e32 v0, v8, v14
	v_add_f32_e32 v1, v12, v15
	v_sub_f32_e32 v2, v4, v6
	v_sub_f32_e32 v3, v5, v7
	v_add_nc_u32_e32 v24, 0x400, v17
	v_add_f32_e32 v4, v4, v6
	v_add_f32_e32 v5, v5, v7
	;; [unrolled: 1-line block ×4, first 2 shown]
	ds_write2_b64 v24, v[0:1], v[2:3] offset0:52 offset1:142
	ds_write2_b64 v17, v[4:5], v[6:7] offset1:90
	v_add_f32_e32 v0, v79, v29
	v_add_f32_e32 v2, v76, v32
	;; [unrolled: 1-line block ×3, first 2 shown]
	v_sub_f32_e32 v9, v12, v15
	v_sub_f32_e32 v8, v8, v14
	v_fmac_f32_e32 v19, -0.5, v0
	v_add_f32_e32 v0, v31, v121
	v_fma_f32 v6, -0.5, v2, v18
	v_add_f32_e32 v2, v30, v78
	v_sub_f32_e32 v10, v10, v22
	v_sub_f32_e32 v11, v13, v23
	v_add_nc_u32_e32 v12, 0x800, v17
	v_add_f32_e32 v1, v18, v76
	v_add_f32_e32 v5, v87, v31
	v_fmac_f32_e32 v87, -0.5, v0
	v_sub_f32_e32 v0, v30, v78
	v_add_f32_e32 v7, v77, v30
	v_fmac_f32_e32 v77, -0.5, v2
	v_sub_f32_e32 v2, v31, v121
	ds_write2_b64 v12, v[10:11], v[8:9] offset0:104 offset1:194
	v_add_f32_e32 v4, v1, v32
	v_sub_f32_e32 v1, v79, v29
	v_fmamk_f32 v9, v0, 0x3f5db3d7, v87
	v_fmac_f32_e32 v87, 0xbf5db3d7, v0
	v_fmamk_f32 v11, v2, 0xbf5db3d7, v77
	v_fmac_f32_e32 v77, 0x3f5db3d7, v2
	v_sub_f32_e32 v8, v76, v32
	v_fmamk_f32 v10, v1, 0x3f5db3d7, v6
	v_fmac_f32_e32 v6, 0xbf5db3d7, v1
	v_mul_f32_e32 v14, -0.5, v87
	v_mul_f32_e32 v15, -0.5, v77
	v_lshlrev_b32_sdwa v0, v115, v21 dst_sel:DWORD dst_unused:UNUSED_PAD src0_sel:DWORD src1_sel:WORD_0
	v_mul_u32_u24_e32 v1, 0x10e0, v20
	v_add_f32_e32 v12, v3, v29
	v_fmamk_f32 v13, v8, 0xbf5db3d7, v19
	v_fmac_f32_e32 v19, 0x3f5db3d7, v8
	v_fmac_f32_e32 v14, 0x3f5db3d7, v77
	;; [unrolled: 1-line block ×3, first 2 shown]
	v_add_f32_e32 v5, v5, v121
	v_add_f32_e32 v7, v7, v78
	v_add3_u32 v17, 0, v1, v0
	v_add_f32_e32 v0, v6, v14
	v_add_f32_e32 v1, v19, v15
	v_sub_f32_e32 v2, v4, v5
	v_sub_f32_e32 v3, v12, v7
	v_add_nc_u32_e32 v21, 0x400, v17
	v_add_f32_e32 v4, v4, v5
	v_add_f32_e32 v5, v12, v7
	v_mul_u32_u24_e32 v12, 5, v60
	v_sub_f32_e32 v7, v19, v15
	v_mul_i32_i24_e32 v15, 5, v64
	v_mul_f32_e32 v18, 0x3f5db3d7, v11
	v_mul_f32_e32 v20, 0xbf5db3d7, v9
	ds_write2_b64 v21, v[0:1], v[2:3] offset0:52 offset1:142
	v_lshlrev_b32_e32 v2, 3, v12
	v_lshlrev_b64 v[0:1], 3, v[15:16]
	v_fmac_f32_e32 v18, 0.5, v9
	v_fmac_f32_e32 v20, 0.5, v11
	v_sub_f32_e32 v6, v6, v14
	v_add_co_u32 v25, s0, s12, v2
	v_add_co_ci_u32_e64 v26, null, s13, 0, s0
	v_add_co_u32 v29, s0, s12, v0
	v_add_f32_e32 v8, v10, v18
	v_add_f32_e32 v9, v13, v20
	v_sub_f32_e32 v10, v10, v18
	v_sub_f32_e32 v11, v13, v20
	v_add_nc_u32_e32 v13, 0x800, v17
	v_add_co_ci_u32_e64 v30, s0, s13, v1, s0
	v_add_co_u32 v0, s0, 0x1000, v25
	v_mul_i32_i24_e32 v15, 5, v75
	v_add_co_ci_u32_e64 v1, s0, 0, v26, s0
	ds_write2_b64 v13, v[10:11], v[6:7] offset0:104 offset1:194
	v_add_co_u32 v6, s0, 0x1000, v29
	v_add_co_ci_u32_e64 v7, s0, 0, v30, s0
	v_lshlrev_b64 v[10:11], 3, v[15:16]
	v_mul_i32_i24_e32 v15, 5, v74
	ds_write2_b64 v17, v[4:5], v[8:9] offset1:90
	s_waitcnt lgkmcnt(0)
	s_barrier
	buffer_gl0_inv
	s_clause 0x1
	global_load_dwordx4 v[2:5], v[0:1], off offset:200
	global_load_dwordx4 v[6:9], v[6:7], off offset:200
	v_lshlrev_b64 v[0:1], 3, v[15:16]
	v_add_co_u32 v33, s0, s12, v10
	v_mul_i32_i24_e32 v15, 5, v73
	v_add_co_ci_u32_e64 v34, s0, s13, v11, s0
	v_add_co_u32 v37, s0, s12, v0
	v_add_co_ci_u32_e64 v38, s0, s13, v1, s0
	v_add_co_u32 v0, s0, 0x1000, v33
	v_lshlrev_b64 v[14:15], 3, v[15:16]
	v_add_co_ci_u32_e64 v1, s0, 0, v34, s0
	v_add_co_u32 v17, s0, 0x1000, v37
	v_add_co_ci_u32_e64 v18, s0, 0, v38, s0
	v_add_co_u32 v41, s0, s12, v14
	v_add_co_ci_u32_e64 v42, s0, s13, v15, s0
	s_clause 0x1
	global_load_dwordx4 v[10:13], v[0:1], off offset:200
	global_load_dwordx4 v[17:20], v[17:18], off offset:200
	v_add_co_u32 v0, s0, 0x1000, v41
	v_add_co_ci_u32_e64 v1, s0, 0, v42, s0
	global_load_dwordx4 v[21:24], v[0:1], off offset:200
	v_add_co_u32 v0, s0, 0x10c8, v25
	v_add_co_ci_u32_e64 v1, s0, 0, v26, s0
	v_add_co_u32 v14, s0, 0x10c8, v29
	v_add_co_ci_u32_e64 v15, s0, 0, v30, s0
	global_load_dwordx4 v[25:28], v[0:1], off offset:16
	v_add_co_u32 v45, s0, 0x10c8, v33
	global_load_dwordx4 v[29:32], v[14:15], off offset:16
	v_add_co_ci_u32_e64 v46, s0, 0, v34, s0
	v_add_co_u32 v47, s0, 0x10c8, v37
	v_add_co_ci_u32_e64 v48, s0, 0, v38, s0
	global_load_dwordx4 v[33:36], v[45:46], off offset:16
	v_add_co_u32 v49, s0, 0x10c8, v41
	global_load_dwordx4 v[37:40], v[47:48], off offset:16
	v_add_co_ci_u32_e64 v50, s0, 0, v42, s0
	s_clause 0x5
	global_load_dwordx4 v[41:44], v[49:50], off offset:16
	global_load_dwordx2 v[57:58], v[0:1], off offset:32
	global_load_dwordx2 v[14:15], v[14:15], off offset:32
	;; [unrolled: 1-line block ×5, first 2 shown]
	ds_read_b64 v[76:77], v114
	ds_read2_b64 v[45:48], v100 offset0:56 offset1:164
	ds_read2_b64 v[49:52], v108 offset0:136 offset1:244
	ds_read_b64 v[0:1], v97
	ds_read2_b64 v[53:56], v99 offset0:16 offset1:124
	s_waitcnt vmcnt(14) lgkmcnt(4)
	v_mul_f32_e32 v59, v3, v77
	v_mul_f32_e32 v86, v3, v76
	s_waitcnt lgkmcnt(3)
	v_mul_f32_e32 v3, v5, v46
	s_waitcnt vmcnt(13)
	v_mul_f32_e32 v100, v47, v9
	v_mul_f32_e32 v87, v5, v45
	v_fma_f32 v59, v2, v76, -v59
	v_fmac_f32_e32 v86, v2, v77
	ds_read2_b64 v[76:79], v107 offset0:96 offset1:204
	v_fma_f32 v99, v4, v45, -v3
	v_mul_f32_e32 v2, v48, v9
	s_waitcnt lgkmcnt(3)
	v_mul_f32_e32 v3, v50, v7
	v_mul_f32_e32 v107, v49, v7
	v_fmac_f32_e32 v100, v48, v8
	v_fmac_f32_e32 v87, v4, v46
	v_fma_f32 v108, v47, v8, -v2
	v_fma_f32 v114, v49, v6, -v3
	v_fmac_f32_e32 v107, v50, v6
	ds_read2_b64 v[6:9], v102 offset0:104 offset1:212
	ds_read2_b64 v[45:48], v65 offset0:112 offset1:220
	s_waitcnt vmcnt(12) lgkmcnt(3)
	v_mul_f32_e32 v3, v54, v13
	v_mul_f32_e32 v102, v53, v13
	s_waitcnt vmcnt(11)
	v_mul_f32_e32 v4, v56, v20
	v_mul_f32_e32 v2, v52, v11
	;; [unrolled: 1-line block ×3, first 2 shown]
	v_fma_f32 v53, v53, v12, -v3
	v_fmac_f32_e32 v102, v54, v12
	v_mul_f32_e32 v54, v55, v20
	s_waitcnt lgkmcnt(2)
	v_mul_f32_e32 v3, v77, v18
	v_mul_f32_e32 v12, v76, v18
	v_fma_f32 v11, v55, v19, -v4
	s_waitcnt vmcnt(10)
	v_mul_f32_e32 v4, v79, v22
	v_fmac_f32_e32 v54, v56, v19
	v_fma_f32 v13, v76, v17, -v3
	v_fmac_f32_e32 v12, v77, v17
	ds_read2_b64 v[17:20], v104 offset0:64 offset1:172
	v_fma_f32 v116, v51, v10, -v2
	v_mul_f32_e32 v2, v78, v22
	v_fma_f32 v3, v78, v21, -v4
	s_waitcnt lgkmcnt(2)
	v_mul_f32_e32 v4, v7, v24
	v_mul_f32_e32 v5, v6, v24
	v_fmac_f32_e32 v115, v52, v10
	s_waitcnt vmcnt(9)
	v_mul_f32_e32 v10, v26, v9
	ds_read2_b64 v[49:52], v98 offset0:72 offset1:180
	v_fmac_f32_e32 v2, v79, v21
	v_mul_f32_e32 v55, v26, v8
	v_fma_f32 v4, v6, v23, -v4
	v_fmac_f32_e32 v5, v7, v23
	s_waitcnt lgkmcnt(2)
	v_mul_f32_e32 v6, v46, v28
	v_mul_f32_e32 v65, v45, v28
	ds_read2_b64 v[21:24], v106 offset0:24 offset1:132
	v_fma_f32 v56, v25, v8, -v10
	s_waitcnt vmcnt(8)
	v_mul_f32_e32 v7, v48, v32
	v_mul_f32_e32 v76, v47, v32
	v_fmac_f32_e32 v55, v25, v9
	v_fma_f32 v45, v45, v27, -v6
	v_fmac_f32_e32 v65, v46, v27
	ds_read2_b64 v[25:28], v101 offset0:32 offset1:140
	v_fma_f32 v46, v47, v31, -v7
	v_fmac_f32_e32 v76, v48, v31
	s_waitcnt lgkmcnt(3)
	v_mul_f32_e32 v6, v18, v30
	v_mul_f32_e32 v47, v17, v30
	s_waitcnt vmcnt(7)
	v_mul_f32_e32 v7, v20, v34
	v_mul_f32_e32 v48, v19, v34
	s_waitcnt vmcnt(6) lgkmcnt(2)
	v_mul_f32_e32 v79, v51, v40
	v_fma_f32 v34, v17, v29, -v6
	v_fmac_f32_e32 v47, v18, v29
	v_fma_f32 v77, v19, v33, -v7
	v_fmac_f32_e32 v48, v20, v33
	ds_read2_b64 v[17:20], v103 offset0:120 offset1:228
	ds_read2_b64 v[29:32], v105 offset0:80 offset1:188
	v_mul_f32_e32 v6, v52, v40
	s_waitcnt lgkmcnt(3)
	v_mul_f32_e32 v7, v22, v38
	v_mul_f32_e32 v8, v50, v36
	;; [unrolled: 1-line block ×3, first 2 shown]
	v_fmac_f32_e32 v79, v52, v39
	v_fma_f32 v101, v51, v39, -v6
	v_fma_f32 v52, v21, v37, -v7
	s_waitcnt vmcnt(5)
	v_mul_f32_e32 v9, v23, v42
	s_waitcnt lgkmcnt(2)
	v_mul_f32_e32 v6, v25, v44
	s_waitcnt vmcnt(4)
	v_mul_f32_e32 v21, v28, v58
	v_fma_f32 v78, v49, v35, -v8
	v_fmac_f32_e32 v98, v22, v37
	v_mul_f32_e32 v7, v24, v42
	v_mul_f32_e32 v8, v26, v44
	v_fmac_f32_e32 v9, v24, v41
	v_fmac_f32_e32 v6, v26, v43
	v_fma_f32 v24, v27, v57, -v21
	v_mul_f32_e32 v26, v27, v58
	ds_read_b64 v[21:22], v88
	v_mul_f32_e32 v49, v49, v36
	v_fma_f32 v10, v23, v41, -v7
	v_fma_f32 v7, v25, v43, -v8
	s_waitcnt vmcnt(3) lgkmcnt(2)
	v_mul_f32_e32 v8, v18, v15
	v_mul_f32_e32 v36, v17, v15
	v_fmac_f32_e32 v26, v28, v57
	s_waitcnt vmcnt(1) lgkmcnt(1)
	v_mul_f32_e32 v57, v29, v83
	v_fmac_f32_e32 v49, v50, v35
	v_fma_f32 v37, v17, v14, -v8
	v_fmac_f32_e32 v36, v18, v14
	v_mul_f32_e32 v14, v30, v83
	v_fmac_f32_e32 v57, v30, v82
	v_add_f32_e32 v28, v55, v26
	v_add_f32_e32 v30, v56, v24
	v_add_f32_e32 v33, v59, v56
	v_fma_f32 v58, v29, v82, -v14
	v_add_f32_e32 v29, v87, v65
	v_add_f32_e32 v35, v86, v55
	v_fmac_f32_e32 v86, -0.5, v28
	v_sub_f32_e32 v28, v56, v24
	v_fmac_f32_e32 v59, -0.5, v30
	v_sub_f32_e32 v30, v55, v26
	v_mul_f32_e32 v15, v20, v81
	v_mul_f32_e32 v50, v19, v81
	s_waitcnt vmcnt(0)
	v_mul_f32_e32 v23, v32, v85
	v_add_f32_e32 v25, v99, v45
	s_waitcnt lgkmcnt(0)
	v_add_f32_e32 v38, v22, v87
	v_fmac_f32_e32 v22, -0.5, v29
	v_fmamk_f32 v29, v28, 0xbf5db3d7, v86
	v_fmac_f32_e32 v86, 0x3f5db3d7, v28
	v_fmamk_f32 v28, v30, 0x3f5db3d7, v59
	v_fmac_f32_e32 v59, 0xbf5db3d7, v30
	v_fma_f32 v51, v19, v80, -v15
	v_fmac_f32_e32 v50, v20, v80
	v_mul_f32_e32 v8, v31, v85
	v_fma_f32 v27, -0.5, v25, v21
	v_sub_f32_e32 v25, v87, v65
	v_sub_f32_e32 v30, v99, v45
	v_fma_f32 v80, v31, v84, -v23
	v_mul_f32_e32 v31, -0.5, v86
	v_mul_f32_e32 v40, -0.5, v59
	ds_read_b64 v[14:15], v96
	ds_read_b64 v[17:18], v95
	;; [unrolled: 1-line block ×3, first 2 shown]
	v_fmamk_f32 v39, v25, 0x3f5db3d7, v27
	v_fmamk_f32 v41, v30, 0xbf5db3d7, v22
	v_fmac_f32_e32 v22, 0x3f5db3d7, v30
	v_fmac_f32_e32 v31, 0xbf5db3d7, v59
	v_fmac_f32_e32 v27, 0xbf5db3d7, v25
	v_fmac_f32_e32 v40, 0x3f5db3d7, v86
	v_fmac_f32_e32 v8, v32, v84
	v_add_f32_e32 v30, v38, v65
	v_add_f32_e32 v32, v35, v26
	v_mul_f32_e32 v35, 0xbf5db3d7, v28
	v_add_f32_e32 v23, v22, v31
	v_sub_f32_e32 v25, v22, v31
	v_add_f32_e32 v22, v27, v40
	v_add_f32_e32 v31, v33, v24
	v_mul_f32_e32 v33, 0x3f5db3d7, v29
	v_sub_f32_e32 v24, v27, v40
	v_add_f32_e32 v27, v30, v32
	v_fmac_f32_e32 v35, 0.5, v29
	v_sub_f32_e32 v29, v30, v32
	v_add_f32_e32 v32, v47, v36
	v_add_f32_e32 v42, v34, v37
	;; [unrolled: 1-line block ×6, first 2 shown]
	v_fmac_f32_e32 v107, -0.5, v32
	v_sub_f32_e32 v32, v34, v37
	v_fmac_f32_e32 v114, -0.5, v42
	v_sub_f32_e32 v34, v47, v36
	v_add_f32_e32 v21, v21, v45
	v_fmac_f32_e32 v33, 0.5, v28
	v_add_f32_e32 v38, v108, v46
	s_waitcnt lgkmcnt(2)
	v_add_f32_e32 v42, v15, v100
	v_fmac_f32_e32 v15, -0.5, v40
	v_fmamk_f32 v40, v32, 0xbf5db3d7, v107
	v_fmac_f32_e32 v107, 0x3f5db3d7, v32
	v_fmamk_f32 v45, v34, 0x3f5db3d7, v114
	v_fmac_f32_e32 v114, 0xbf5db3d7, v34
	v_add_f32_e32 v26, v21, v31
	v_sub_f32_e32 v28, v21, v31
	v_add_f32_e32 v30, v39, v33
	v_fma_f32 v21, -0.5, v38, v14
	v_sub_f32_e32 v38, v100, v76
	v_sub_f32_e32 v34, v108, v46
	;; [unrolled: 1-line block ×3, first 2 shown]
	v_mul_f32_e32 v39, -0.5, v107
	v_mul_f32_e32 v55, -0.5, v114
	v_fmamk_f32 v47, v38, 0x3f5db3d7, v21
	v_fmamk_f32 v56, v34, 0xbf5db3d7, v15
	v_fmac_f32_e32 v15, 0x3f5db3d7, v34
	v_fmac_f32_e32 v39, 0xbf5db3d7, v114
	;; [unrolled: 1-line block ×4, first 2 shown]
	v_add_f32_e32 v14, v14, v108
	v_add_f32_e32 v31, v41, v35
	v_sub_f32_e32 v33, v41, v35
	v_add_f32_e32 v35, v15, v39
	v_sub_f32_e32 v15, v15, v39
	v_add_f32_e32 v34, v21, v55
	v_add_f32_e32 v38, v14, v46
	;; [unrolled: 1-line block ×4, first 2 shown]
	v_sub_f32_e32 v14, v21, v55
	v_add_f32_e32 v55, v77, v51
	v_add_f32_e32 v41, v43, v37
	v_mul_f32_e32 v43, 0x3f5db3d7, v40
	v_mul_f32_e32 v44, 0xbf5db3d7, v45
	v_add_f32_e32 v37, v39, v42
	v_sub_f32_e32 v39, v39, v42
	v_add_f32_e32 v42, v48, v50
	v_add_f32_e32 v59, v116, v77
	;; [unrolled: 1-line block ×3, first 2 shown]
	v_fmac_f32_e32 v116, -0.5, v55
	v_sub_f32_e32 v48, v48, v50
	v_fmac_f32_e32 v43, 0.5, v45
	v_fmac_f32_e32 v44, 0.5, v40
	v_fmac_f32_e32 v115, -0.5, v42
	v_sub_f32_e32 v42, v77, v51
	v_fmamk_f32 v77, v48, 0x3f5db3d7, v116
	v_add_f32_e32 v36, v38, v41
	v_add_f32_e32 v21, v53, v78
	v_sub_f32_e32 v38, v38, v41
	v_add_f32_e32 v40, v47, v43
	v_add_f32_e32 v41, v56, v44
	s_waitcnt lgkmcnt(1)
	v_add_f32_e32 v55, v18, v102
	v_fmamk_f32 v76, v42, 0xbf5db3d7, v115
	v_fmac_f32_e32 v115, 0x3f5db3d7, v42
	v_fmac_f32_e32 v116, 0xbf5db3d7, v48
	v_sub_f32_e32 v42, v47, v43
	v_sub_f32_e32 v43, v56, v44
	v_mul_f32_e32 v56, 0xbf5db3d7, v77
	v_fma_f32 v21, -0.5, v21, v17
	v_sub_f32_e32 v45, v102, v49
	v_add_f32_e32 v46, v102, v49
	v_mul_f32_e32 v48, -0.5, v116
	v_add_f32_e32 v17, v17, v53
	v_add_f32_e32 v49, v55, v49
	;; [unrolled: 1-line block ×3, first 2 shown]
	v_mul_f32_e32 v55, 0x3f5db3d7, v76
	v_fmac_f32_e32 v56, 0.5, v76
	v_add_f32_e32 v59, v98, v57
	v_add_f32_e32 v76, v52, v58
	v_fmac_f32_e32 v18, -0.5, v46
	v_sub_f32_e32 v46, v53, v78
	v_mul_f32_e32 v47, -0.5, v115
	v_fmamk_f32 v81, v45, 0x3f5db3d7, v21
	v_fmac_f32_e32 v21, 0xbf5db3d7, v45
	v_fmac_f32_e32 v48, 0x3f5db3d7, v115
	v_add_f32_e32 v53, v17, v78
	v_add_f32_e32 v50, v65, v50
	v_fmac_f32_e32 v55, 0.5, v77
	v_add_f32_e32 v65, v54, v79
	v_add_f32_e32 v77, v13, v52
	v_add_f32_e32 v78, v12, v98
	v_fmac_f32_e32 v12, -0.5, v59
	v_sub_f32_e32 v52, v52, v58
	v_fmac_f32_e32 v13, -0.5, v76
	v_sub_f32_e32 v59, v98, v57
	v_fmamk_f32 v82, v46, 0xbf5db3d7, v18
	v_fmac_f32_e32 v18, 0x3f5db3d7, v46
	v_fmac_f32_e32 v47, 0xbf5db3d7, v116
	v_add_f32_e32 v44, v21, v48
	v_sub_f32_e32 v17, v21, v48
	v_add_f32_e32 v46, v53, v51
	v_add_f32_e32 v21, v11, v101
	v_sub_f32_e32 v48, v53, v51
	v_sub_f32_e32 v53, v54, v79
	s_waitcnt lgkmcnt(0)
	v_add_f32_e32 v54, v20, v54
	v_fmac_f32_e32 v20, -0.5, v65
	v_fmamk_f32 v65, v52, 0xbf5db3d7, v12
	v_fmac_f32_e32 v12, 0x3f5db3d7, v52
	v_fmamk_f32 v76, v59, 0x3f5db3d7, v13
	v_fmac_f32_e32 v13, 0xbf5db3d7, v59
	v_add_f32_e32 v45, v18, v47
	v_sub_f32_e32 v18, v18, v47
	v_add_f32_e32 v47, v49, v50
	v_sub_f32_e32 v49, v49, v50
	v_add_f32_e32 v50, v81, v55
	v_fma_f32 v21, -0.5, v21, v19
	v_sub_f32_e32 v59, v11, v101
	v_sub_f32_e32 v52, v81, v55
	v_mul_f32_e32 v55, -0.5, v12
	v_mul_f32_e32 v83, -0.5, v13
	v_add_f32_e32 v57, v78, v57
	v_mul_f32_e32 v78, 0xbf5db3d7, v76
	v_add_f32_e32 v51, v82, v56
	v_fmamk_f32 v81, v53, 0x3f5db3d7, v21
	v_fmamk_f32 v84, v59, 0xbf5db3d7, v20
	v_fmac_f32_e32 v20, 0x3f5db3d7, v59
	v_fmac_f32_e32 v55, 0xbf5db3d7, v13
	;; [unrolled: 1-line block ×4, first 2 shown]
	v_add_f32_e32 v13, v19, v11
	v_sub_f32_e32 v53, v82, v56
	v_add_f32_e32 v59, v54, v79
	v_add_f32_e32 v56, v77, v58
	v_mul_f32_e32 v77, 0x3f5db3d7, v65
	v_fmac_f32_e32 v78, 0.5, v65
	v_add_f32_e32 v65, v9, v8
	v_add_f32_e32 v79, v10, v80
	v_add_f32_e32 v11, v21, v83
	v_add_f32_e32 v13, v13, v101
	v_sub_f32_e32 v19, v21, v83
	v_fmac_f32_e32 v77, 0.5, v76
	v_add_f32_e32 v21, v4, v7
	v_add_f32_e32 v76, v5, v6
	;; [unrolled: 1-line block ×4, first 2 shown]
	v_fmac_f32_e32 v2, -0.5, v65
	v_sub_f32_e32 v10, v10, v80
	v_fmac_f32_e32 v3, -0.5, v79
	v_sub_f32_e32 v9, v9, v8
	v_add_f32_e32 v54, v13, v56
	v_sub_f32_e32 v56, v13, v56
	v_fma_f32 v13, -0.5, v21, v0
	v_sub_f32_e32 v21, v5, v6
	v_add_f32_e32 v5, v1, v5
	v_fmac_f32_e32 v1, -0.5, v76
	v_fmamk_f32 v65, v10, 0xbf5db3d7, v2
	v_fmac_f32_e32 v2, 0x3f5db3d7, v10
	v_fmamk_f32 v76, v9, 0x3f5db3d7, v3
	v_fmac_f32_e32 v3, 0xbf5db3d7, v9
	v_sub_f32_e32 v10, v4, v7
	v_add_f32_e32 v0, v0, v4
	v_add_f32_e32 v58, v81, v77
	v_sub_f32_e32 v9, v81, v77
	v_mul_f32_e32 v77, -0.5, v2
	v_mul_f32_e32 v81, -0.5, v3
	v_add_f32_e32 v12, v20, v55
	v_sub_f32_e32 v20, v20, v55
	v_add_f32_e32 v55, v59, v57
	v_sub_f32_e32 v57, v59, v57
	v_add_f32_e32 v59, v84, v78
	v_fmamk_f32 v85, v10, 0xbf5db3d7, v1
	v_fmac_f32_e32 v1, 0x3f5db3d7, v10
	v_sub_f32_e32 v10, v84, v78
	v_add_f32_e32 v0, v0, v7
	v_add_f32_e32 v7, v82, v80
	v_mul_f32_e32 v78, 0x3f5db3d7, v65
	v_mul_f32_e32 v80, 0xbf5db3d7, v76
	v_fmamk_f32 v79, v21, 0x3f5db3d7, v13
	v_fmac_f32_e32 v77, 0xbf5db3d7, v3
	v_fmac_f32_e32 v13, 0xbf5db3d7, v21
	;; [unrolled: 1-line block ×3, first 2 shown]
	v_add_f32_e32 v21, v5, v6
	v_add_f32_e32 v8, v83, v8
	v_fmac_f32_e32 v78, 0.5, v76
	v_fmac_f32_e32 v80, 0.5, v65
	v_add_f32_e32 v2, v1, v77
	v_sub_f32_e32 v3, v13, v81
	v_sub_f32_e32 v4, v1, v77
	v_add_f32_e32 v1, v13, v81
	v_add_f32_e32 v5, v0, v7
	v_add_f32_e32 v6, v21, v8
	v_sub_f32_e32 v7, v0, v7
	v_sub_f32_e32 v8, v21, v8
	v_add_f32_e32 v76, v79, v78
	v_add_f32_e32 v77, v85, v80
	v_sub_f32_e32 v78, v79, v78
	v_sub_f32_e32 v79, v85, v80
	s_barrier
	buffer_gl0_inv
	ds_write_b64 v88, v[26:27]
	ds_write_b64 v88, v[30:31] offset:4320
	ds_write_b64 v88, v[22:23] offset:8640
	ds_write_b64 v88, v[28:29] offset:12960
	ds_write_b64 v88, v[32:33] offset:17280
	ds_write_b64 v88, v[24:25] offset:21600
	ds_write_b64 v96, v[36:37]
	ds_write_b64 v96, v[40:41] offset:4320
	ds_write_b64 v96, v[34:35] offset:8640
	ds_write_b64 v96, v[38:39] offset:12960
	ds_write_b64 v96, v[42:43] offset:17280
	ds_write_b64 v96, v[14:15] offset:21600
	;; [unrolled: 6-line block ×5, first 2 shown]
	s_waitcnt lgkmcnt(0)
	s_barrier
	buffer_gl0_inv
	ds_read_b64 v[2:3], v88
	v_sub_nc_u32_e32 v4, 0, v61
                                        ; implicit-def: $vgpr1
                                        ; implicit-def: $vgpr10
	v_cmpx_ne_u32_e32 0, v60
	s_xor_b32 s5, exec_lo, s5
	s_cbranch_execz .LBB0_15
; %bb.14:
	v_mov_b32_e32 v61, v16
	v_lshlrev_b64 v[0:1], 3, v[60:61]
	v_add_co_u32 v0, s0, s1, v0
	v_add_co_ci_u32_e64 v1, s0, s4, v1, s0
	global_load_dwordx2 v[5:6], v[0:1], off
	ds_read_b64 v[0:1], v4 offset:25920
	s_waitcnt lgkmcnt(0)
	v_sub_f32_e32 v7, v2, v0
	v_add_f32_e32 v8, v1, v3
	v_sub_f32_e32 v1, v3, v1
	v_add_f32_e32 v0, v0, v2
	v_mul_f32_e32 v3, 0.5, v7
	v_mul_f32_e32 v2, 0.5, v8
	;; [unrolled: 1-line block ×3, first 2 shown]
	s_waitcnt vmcnt(0)
	v_mul_f32_e32 v7, v6, v3
	v_fma_f32 v8, v2, v6, v1
	v_fma_f32 v1, v2, v6, -v1
	v_fma_f32 v9, 0.5, v0, v7
	v_fma_f32 v0, v0, 0.5, -v7
	v_fma_f32 v10, -v5, v3, v8
	v_fma_f32 v1, -v5, v3, v1
	v_fmac_f32_e32 v9, v5, v2
	v_fma_f32 v0, -v5, v2, v0
                                        ; implicit-def: $vgpr2_vgpr3
	ds_write_b32 v88, v9
.LBB0_15:
	s_or_saveexec_b32 s0, s5
	v_sub_nc_u32_e32 v9, 0, v111
	v_sub_nc_u32_e32 v8, 0, v112
	;; [unrolled: 1-line block ×5, first 2 shown]
	s_xor_b32 exec_lo, exec_lo, s0
	s_cbranch_execz .LBB0_17
; %bb.16:
	v_mov_b32_e32 v10, 0
	s_waitcnt lgkmcnt(0)
	v_add_f32_e32 v11, v2, v3
	v_sub_f32_e32 v0, v2, v3
	ds_read_b32 v1, v10 offset:12964
	s_waitcnt lgkmcnt(0)
	v_xor_b32_e32 v2, 0x80000000, v1
	v_mov_b32_e32 v1, v10
	ds_write_b32 v88, v11
	ds_write_b32 v10, v2 offset:12964
.LBB0_17:
	s_or_b32 exec_lo, exec_lo, s0
	v_mov_b32_e32 v65, 0
	v_add_nc_u32_e32 v7, v89, v7
	s_waitcnt lgkmcnt(0)
	v_lshlrev_b64 v[2:3], 3, v[64:65]
	v_mov_b32_e32 v76, v65
	v_add_nc_u32_e32 v64, 0x438, v60
	v_lshlrev_b64 v[11:12], 3, v[75:76]
	v_add_co_u32 v2, s0, s1, v2
	v_add_co_ci_u32_e64 v3, s0, s4, v3, s0
	v_mov_b32_e32 v75, v65
	v_add_co_u32 v11, s0, s1, v11
	global_load_dwordx2 v[2:3], v[2:3], off
	v_add_co_ci_u32_e64 v12, s0, s4, v12, s0
	v_lshlrev_b64 v[13:14], 3, v[74:75]
	v_mov_b32_e32 v74, v65
	global_load_dwordx2 v[11:12], v[11:12], off
	v_add_co_u32 v13, s0, s1, v13
	v_add_co_ci_u32_e64 v14, s0, s4, v14, s0
	v_lshlrev_b64 v[15:16], 3, v[73:74]
	v_mov_b32_e32 v73, v65
	global_load_dwordx2 v[13:14], v[13:14], off
	v_add_co_u32 v15, s0, s1, v15
	;; [unrolled: 5-line block ×4, first 2 shown]
	v_add_co_ci_u32_e64 v20, s0, s4, v20, s0
	v_lshlrev_b64 v[21:22], 3, v[70:71]
	v_mov_b32_e32 v70, v65
	global_load_dwordx2 v[19:20], v[19:20], off
	ds_write_b32 v88, v10 offset:4
	ds_write_b64 v4, v[0:1] offset:25920
	ds_read_b64 v[0:1], v96
	ds_read_b64 v[23:24], v4 offset:25056
	v_add_co_u32 v21, s0, s1, v21
	v_add_co_ci_u32_e64 v22, s0, s4, v22, s0
	global_load_dwordx2 v[21:22], v[21:22], off
	s_waitcnt lgkmcnt(0)
	v_sub_f32_e32 v10, v0, v23
	v_add_f32_e32 v25, v1, v24
	v_sub_f32_e32 v1, v1, v24
	v_add_f32_e32 v23, v0, v23
	v_mul_f32_e32 v10, 0.5, v10
	v_mul_f32_e32 v24, 0.5, v25
	;; [unrolled: 1-line block ×3, first 2 shown]
	s_waitcnt vmcnt(6)
	v_mul_f32_e32 v25, v3, v10
	v_fma_f32 v26, v24, v3, v1
	v_fma_f32 v3, v24, v3, -v1
	v_fma_f32 v0, 0.5, v23, v25
	v_fma_f32 v23, v23, 0.5, -v25
	v_fma_f32 v1, -v2, v10, v26
	v_fma_f32 v3, -v2, v10, v3
	v_fmac_f32_e32 v0, v2, v24
	v_fma_f32 v2, -v2, v24, v23
	v_lshlrev_b64 v[23:24], 3, v[69:70]
	v_mov_b32_e32 v69, v65
	ds_write_b64 v96, v[0:1]
	ds_write_b64 v4, v[2:3] offset:25056
	ds_read_b64 v[0:1], v95
	ds_read_b64 v[2:3], v4 offset:24192
	v_add_co_u32 v23, s0, s1, v23
	v_add_co_ci_u32_e64 v24, s0, s4, v24, s0
	global_load_dwordx2 v[23:24], v[23:24], off
	s_waitcnt lgkmcnt(0)
	v_sub_f32_e32 v10, v0, v2
	v_add_f32_e32 v25, v1, v3
	v_sub_f32_e32 v1, v1, v3
	v_add_f32_e32 v2, v0, v2
	v_mul_f32_e32 v10, 0.5, v10
	v_mul_f32_e32 v25, 0.5, v25
	v_mul_f32_e32 v1, 0.5, v1
	s_waitcnt vmcnt(6)
	v_mul_f32_e32 v3, v12, v10
	v_fma_f32 v26, v25, v12, v1
	v_fma_f32 v12, v25, v12, -v1
	v_fma_f32 v0, 0.5, v2, v3
	v_fma_f32 v27, v2, 0.5, -v3
	v_lshlrev_b64 v[2:3], 3, v[68:69]
	v_fma_f32 v1, -v11, v10, v26
	v_fma_f32 v12, -v11, v10, v12
	v_fmac_f32_e32 v0, v11, v25
	v_fma_f32 v11, -v11, v25, v27
	ds_write_b64 v95, v[0:1]
	ds_write_b64 v4, v[11:12] offset:24192
	v_add_co_u32 v2, s0, s1, v2
	v_add_co_ci_u32_e64 v3, s0, s4, v3, s0
	ds_read_b64 v[0:1], v94
	ds_read_b64 v[10:11], v4 offset:23328
	global_load_dwordx2 v[2:3], v[2:3], off
	s_waitcnt lgkmcnt(0)
	v_sub_f32_e32 v12, v0, v10
	v_add_f32_e32 v25, v1, v11
	v_sub_f32_e32 v1, v1, v11
	v_add_f32_e32 v10, v0, v10
	v_mul_f32_e32 v12, 0.5, v12
	v_mul_f32_e32 v25, 0.5, v25
	;; [unrolled: 1-line block ×3, first 2 shown]
	s_waitcnt vmcnt(6)
	v_mul_f32_e32 v11, v14, v12
	v_fma_f32 v26, v25, v14, v1
	v_fma_f32 v14, v25, v14, -v1
	v_fma_f32 v0, 0.5, v10, v11
	v_fma_f32 v27, v10, 0.5, -v11
	v_lshlrev_b64 v[10:11], 3, v[64:65]
	v_fma_f32 v1, -v13, v12, v26
	v_fma_f32 v14, -v13, v12, v14
	v_fmac_f32_e32 v0, v13, v25
	v_fma_f32 v13, -v13, v25, v27
	ds_write_b64 v94, v[0:1]
	ds_write_b64 v4, v[13:14] offset:23328
	v_add_co_u32 v10, s0, s1, v10
	v_add_co_ci_u32_e64 v11, s0, s4, v11, s0
	ds_read_b64 v[0:1], v97
	ds_read_b64 v[12:13], v4 offset:22464
	v_add_nc_u32_e32 v64, 0x4a4, v60
	v_add_nc_u32_e32 v26, v93, v9
	global_load_dwordx2 v[10:11], v[10:11], off
	s_waitcnt lgkmcnt(0)
	v_sub_f32_e32 v14, v0, v12
	v_add_f32_e32 v25, v1, v13
	v_sub_f32_e32 v1, v1, v13
	v_add_f32_e32 v12, v0, v12
	v_mul_f32_e32 v14, 0.5, v14
	v_mul_f32_e32 v25, 0.5, v25
	;; [unrolled: 1-line block ×3, first 2 shown]
	s_waitcnt vmcnt(6)
	v_mul_f32_e32 v13, v16, v14
	v_fma_f32 v9, v25, v16, v1
	v_fma_f32 v16, v25, v16, -v1
	v_fma_f32 v0, 0.5, v12, v13
	v_fma_f32 v27, v12, 0.5, -v13
	v_lshlrev_b64 v[12:13], 3, v[64:65]
	v_fma_f32 v1, -v15, v14, v9
	v_fma_f32 v16, -v15, v14, v16
	v_fmac_f32_e32 v0, v15, v25
	v_fma_f32 v15, -v15, v25, v27
	ds_write_b64 v97, v[0:1]
	ds_write_b64 v4, v[15:16] offset:22464
	v_add_co_u32 v12, s0, s1, v12
	v_add_co_ci_u32_e64 v13, s0, s4, v13, s0
	ds_read_b64 v[0:1], v26
	ds_read_b64 v[14:15], v4 offset:21600
	v_add_nc_u32_e32 v64, 0x510, v60
	v_add_nc_u32_e32 v25, v91, v8
	global_load_dwordx2 v[12:13], v[12:13], off
	s_waitcnt lgkmcnt(0)
	v_sub_f32_e32 v9, v0, v14
	v_add_f32_e32 v16, v1, v15
	v_sub_f32_e32 v1, v1, v15
	v_mul_f32_e32 v15, 0.5, v9
	v_mul_f32_e32 v16, 0.5, v16
	;; [unrolled: 1-line block ×3, first 2 shown]
	v_add_f32_e32 v9, v0, v14
	s_waitcnt vmcnt(6)
	v_mul_f32_e32 v14, v18, v15
	v_fma_f32 v27, v16, v18, v1
	v_fma_f32 v18, v16, v18, -v1
	v_fma_f32 v0, 0.5, v9, v14
	v_fma_f32 v14, v9, 0.5, -v14
	v_lshlrev_b64 v[8:9], 3, v[64:65]
	v_fma_f32 v1, -v17, v15, v27
	v_fma_f32 v15, -v17, v15, v18
	v_fmac_f32_e32 v0, v17, v16
	v_fma_f32 v14, -v17, v16, v14
	ds_write_b64 v26, v[0:1]
	ds_write_b64 v4, v[14:15] offset:21600
	v_add_co_u32 v8, s0, s1, v8
	v_add_co_ci_u32_e64 v9, s0, s4, v9, s0
	ds_read_b64 v[0:1], v25
	ds_read_b64 v[14:15], v4 offset:20736
	v_add_nc_u32_e32 v64, 0x57c, v60
	global_load_dwordx2 v[8:9], v[8:9], off
	s_waitcnt lgkmcnt(0)
	v_sub_f32_e32 v16, v0, v14
	v_add_f32_e32 v17, v1, v15
	v_sub_f32_e32 v1, v1, v15
	v_add_f32_e32 v14, v0, v14
	v_mul_f32_e32 v16, 0.5, v16
	v_mul_f32_e32 v18, 0.5, v17
	;; [unrolled: 1-line block ×3, first 2 shown]
	s_waitcnt vmcnt(6)
	v_mul_f32_e32 v15, v20, v16
	v_fma_f32 v17, v18, v20, v1
	v_fma_f32 v20, v18, v20, -v1
	v_fma_f32 v0, 0.5, v14, v15
	v_fma_f32 v26, v14, 0.5, -v15
	v_lshlrev_b64 v[14:15], 3, v[64:65]
	v_fma_f32 v1, -v19, v16, v17
	v_fma_f32 v17, -v19, v16, v20
	v_fmac_f32_e32 v0, v19, v18
	v_fma_f32 v16, -v19, v18, v26
	ds_write_b64 v25, v[0:1]
	ds_write_b64 v4, v[16:17] offset:20736
	v_add_co_u32 v14, s0, s1, v14
	v_add_co_ci_u32_e64 v15, s0, s4, v15, s0
	ds_read_b64 v[0:1], v7
	ds_read_b64 v[16:17], v4 offset:19872
	v_add_nc_u32_e32 v64, 0x5e8, v60
	global_load_dwordx2 v[14:15], v[14:15], off
	s_waitcnt lgkmcnt(0)
	v_add_f32_e32 v19, v1, v17
	v_sub_f32_e32 v1, v1, v17
	v_sub_f32_e32 v18, v0, v16
	v_mul_f32_e32 v20, 0.5, v19
	v_mul_f32_e32 v17, 0.5, v1
	v_add_f32_e32 v19, v0, v16
	v_lshlrev_b64 v[0:1], 3, v[64:65]
	v_mul_f32_e32 v18, 0.5, v18
	s_waitcnt vmcnt(6)
	v_fma_f32 v26, v20, v22, v17
	v_add_co_u32 v0, s0, s1, v0
	v_add_co_ci_u32_e64 v1, s0, s4, v1, s0
	v_mul_f32_e32 v25, v22, v18
	v_fma_f32 v22, v20, v22, -v17
	v_fma_f32 v17, -v21, v18, v26
	global_load_dwordx2 v[0:1], v[0:1], off
	v_fma_f32 v16, 0.5, v19, v25
	v_fma_f32 v25, v19, 0.5, -v25
	v_fma_f32 v19, -v21, v18, v22
	v_fmac_f32_e32 v16, v21, v20
	v_fma_f32 v18, -v21, v20, v25
	v_add_nc_u32_e32 v20, v92, v6
	ds_write_b64 v7, v[16:17]
	ds_write_b64 v4, v[18:19] offset:19872
	ds_read_b64 v[6:7], v20
	ds_read_b64 v[16:17], v4 offset:19008
	s_waitcnt lgkmcnt(0)
	v_sub_f32_e32 v18, v6, v16
	v_add_f32_e32 v19, v7, v17
	v_sub_f32_e32 v7, v7, v17
	v_add_f32_e32 v16, v6, v16
	v_mul_f32_e32 v17, 0.5, v18
	v_mul_f32_e32 v18, 0.5, v19
	;; [unrolled: 1-line block ×3, first 2 shown]
	s_waitcnt vmcnt(6)
	v_mul_f32_e32 v19, v24, v17
	v_fma_f32 v21, v18, v24, v7
	v_fma_f32 v22, v18, v24, -v7
	v_fma_f32 v6, 0.5, v16, v19
	v_fma_f32 v16, v16, 0.5, -v19
	v_fma_f32 v7, -v23, v17, v21
	v_fma_f32 v17, -v23, v17, v22
	v_fmac_f32_e32 v6, v23, v18
	v_fma_f32 v16, -v23, v18, v16
	v_add_nc_u32_e32 v18, v90, v5
	ds_write_b64 v20, v[6:7]
	ds_write_b64 v4, v[16:17] offset:19008
	ds_read_b64 v[5:6], v18
	ds_read_b64 v[16:17], v4 offset:18144
	s_waitcnt lgkmcnt(0)
	v_sub_f32_e32 v7, v5, v16
	v_add_f32_e32 v19, v6, v17
	v_sub_f32_e32 v6, v6, v17
	v_add_f32_e32 v16, v5, v16
	v_mul_f32_e32 v7, 0.5, v7
	v_mul_f32_e32 v17, 0.5, v19
	;; [unrolled: 1-line block ×3, first 2 shown]
	s_waitcnt vmcnt(5)
	v_mul_f32_e32 v19, v3, v7
	v_fma_f32 v20, v17, v3, v6
	v_fma_f32 v3, v17, v3, -v6
	v_fma_f32 v5, 0.5, v16, v19
	v_fma_f32 v16, v16, 0.5, -v19
	v_fma_f32 v6, -v2, v7, v20
	v_fma_f32 v3, -v2, v7, v3
	v_fmac_f32_e32 v5, v2, v17
	v_fma_f32 v2, -v2, v17, v16
	ds_write_b64 v18, v[5:6]
	ds_write_b64 v4, v[2:3] offset:18144
	ds_read_b64 v[2:3], v88 offset:8640
	ds_read_b64 v[5:6], v4 offset:17280
	s_waitcnt lgkmcnt(0)
	v_sub_f32_e32 v7, v2, v5
	v_add_f32_e32 v16, v3, v6
	v_sub_f32_e32 v3, v3, v6
	v_add_f32_e32 v5, v2, v5
	v_mul_f32_e32 v6, 0.5, v7
	v_mul_f32_e32 v7, 0.5, v16
	v_mul_f32_e32 v3, 0.5, v3
	s_waitcnt vmcnt(4)
	v_mul_f32_e32 v16, v11, v6
	v_fma_f32 v17, v7, v11, v3
	v_fma_f32 v11, v7, v11, -v3
	v_fma_f32 v2, 0.5, v5, v16
	v_fma_f32 v5, v5, 0.5, -v16
	v_fma_f32 v3, -v10, v6, v17
	v_fma_f32 v6, -v10, v6, v11
	v_fmac_f32_e32 v2, v10, v7
	v_fma_f32 v5, -v10, v7, v5
	ds_write_b64 v88, v[2:3] offset:8640
	ds_write_b64 v4, v[5:6] offset:17280
	ds_read_b64 v[2:3], v88 offset:9504
	ds_read_b64 v[5:6], v4 offset:16416
	s_waitcnt lgkmcnt(0)
	v_sub_f32_e32 v7, v2, v5
	v_add_f32_e32 v10, v3, v6
	v_sub_f32_e32 v3, v3, v6
	v_add_f32_e32 v5, v2, v5
	v_mul_f32_e32 v6, 0.5, v7
	v_mul_f32_e32 v7, 0.5, v10
	v_mul_f32_e32 v3, 0.5, v3
	s_waitcnt vmcnt(3)
	v_mul_f32_e32 v10, v13, v6
	v_fma_f32 v11, v7, v13, v3
	v_fma_f32 v13, v7, v13, -v3
	v_fma_f32 v2, 0.5, v5, v10
	v_fma_f32 v5, v5, 0.5, -v10
	v_fma_f32 v3, -v12, v6, v11
	v_fma_f32 v6, -v12, v6, v13
	v_fmac_f32_e32 v2, v12, v7
	v_fma_f32 v5, -v12, v7, v5
	ds_write_b64 v88, v[2:3] offset:9504
	;; [unrolled: 22-line block ×5, first 2 shown]
	ds_write_b64 v4, v[5:6] offset:13824
	s_waitcnt lgkmcnt(0)
	s_barrier
	buffer_gl0_inv
	s_and_saveexec_b32 s0, vcc_lo
	s_cbranch_execz .LBB0_20
; %bb.18:
	v_mul_lo_u32 v2, s3, v66
	v_mul_lo_u32 v3, s2, v67
	v_mad_u64_u32 v[0:1], null, s2, v66, 0
	v_lshl_add_u32 v24, v60, 3, 0
	v_mov_b32_e32 v61, v65
	v_lshlrev_b64 v[6:7], 3, v[62:63]
	v_add_nc_u32_e32 v64, 0x6c, v60
	v_add_nc_u32_e32 v12, 0x400, v24
	v_add3_u32 v1, v1, v3, v2
	ds_read2_b64 v[2:5], v24 offset1:108
	v_lshlrev_b64 v[8:9], 3, v[60:61]
	v_lshlrev_b64 v[10:11], 3, v[64:65]
	v_add_nc_u32_e32 v64, 0xd8, v60
	v_lshlrev_b64 v[0:1], 3, v[0:1]
	v_add_nc_u32_e32 v14, 0xc00, v24
	v_add_nc_u32_e32 v18, 0x1000, v24
	v_add_co_u32 v0, vcc_lo, s10, v0
	v_add_co_ci_u32_e32 v1, vcc_lo, s11, v1, vcc_lo
	v_add_co_u32 v0, vcc_lo, v0, v6
	v_add_co_ci_u32_e32 v1, vcc_lo, v1, v7, vcc_lo
	;; [unrolled: 2-line block ×4, first 2 shown]
	v_lshlrev_b64 v[10:11], 3, v[64:65]
	v_add_nc_u32_e32 v64, 0x144, v60
	s_waitcnt lgkmcnt(0)
	global_store_dwordx2 v[6:7], v[2:3], off
	global_store_dwordx2 v[8:9], v[4:5], off
	ds_read2_b64 v[2:5], v12 offset0:88 offset1:196
	ds_read2_b64 v[6:9], v14 offset0:48 offset1:156
	v_lshlrev_b64 v[12:13], 3, v[64:65]
	v_add_nc_u32_e32 v64, 0x1b0, v60
	v_add_co_u32 v10, vcc_lo, v0, v10
	v_add_co_ci_u32_e32 v11, vcc_lo, v1, v11, vcc_lo
	v_lshlrev_b64 v[14:15], 3, v[64:65]
	v_add_co_u32 v12, vcc_lo, v0, v12
	v_add_co_ci_u32_e32 v13, vcc_lo, v1, v13, vcc_lo
	v_add_nc_u32_e32 v64, 0x21c, v60
	v_add_co_u32 v14, vcc_lo, v0, v14
	v_add_co_ci_u32_e32 v15, vcc_lo, v1, v15, vcc_lo
	v_lshlrev_b64 v[16:17], 3, v[64:65]
	v_add_nc_u32_e32 v64, 0x288, v60
	s_waitcnt lgkmcnt(1)
	global_store_dwordx2 v[10:11], v[2:3], off
	global_store_dwordx2 v[12:13], v[4:5], off
	s_waitcnt lgkmcnt(0)
	global_store_dwordx2 v[14:15], v[6:7], off
	ds_read2_b64 v[2:5], v18 offset0:136 offset1:244
	v_lshlrev_b64 v[6:7], 3, v[64:65]
	v_add_nc_u32_e32 v64, 0x2f4, v60
	v_add_co_u32 v10, vcc_lo, v0, v16
	v_add_co_ci_u32_e32 v11, vcc_lo, v1, v17, vcc_lo
	v_lshlrev_b64 v[12:13], 3, v[64:65]
	v_add_nc_u32_e32 v64, 0x360, v60
	v_add_co_u32 v6, vcc_lo, v0, v6
	v_add_co_ci_u32_e32 v7, vcc_lo, v1, v7, vcc_lo
	v_add_co_u32 v12, vcc_lo, v0, v12
	v_lshlrev_b64 v[14:15], 3, v[64:65]
	v_add_nc_u32_e32 v64, 0x3cc, v60
	v_add_co_ci_u32_e32 v13, vcc_lo, v1, v13, vcc_lo
	v_add_nc_u32_e32 v16, 0x1800, v24
	global_store_dwordx2 v[10:11], v[8:9], off
	s_waitcnt lgkmcnt(0)
	global_store_dwordx2 v[6:7], v[2:3], off
	global_store_dwordx2 v[12:13], v[4:5], off
	v_lshlrev_b64 v[10:11], 3, v[64:65]
	v_add_nc_u32_e32 v64, 0x438, v60
	v_add_nc_u32_e32 v6, 0x2000, v24
	ds_read2_b64 v[2:5], v16 offset0:96 offset1:204
	v_add_co_u32 v14, vcc_lo, v0, v14
	v_lshlrev_b64 v[12:13], 3, v[64:65]
	v_add_nc_u32_e32 v64, 0x4a4, v60
	v_add_co_ci_u32_e32 v15, vcc_lo, v1, v15, vcc_lo
	ds_read2_b64 v[6:9], v6 offset0:56 offset1:164
	v_add_co_u32 v16, vcc_lo, v0, v10
	v_add_co_ci_u32_e32 v17, vcc_lo, v1, v11, vcc_lo
	v_lshlrev_b64 v[10:11], 3, v[64:65]
	v_add_co_u32 v18, vcc_lo, v0, v12
	v_add_nc_u32_e32 v12, 0x2800, v24
	v_add_co_ci_u32_e32 v19, vcc_lo, v1, v13, vcc_lo
	v_add_nc_u32_e32 v64, 0x510, v60
	v_add_co_u32 v20, vcc_lo, v0, v10
	v_add_co_ci_u32_e32 v21, vcc_lo, v1, v11, vcc_lo
	ds_read2_b64 v[10:13], v12 offset0:16 offset1:124
	v_lshlrev_b64 v[22:23], 3, v[64:65]
	v_add_nc_u32_e32 v64, 0x57c, v60
	s_waitcnt lgkmcnt(2)
	global_store_dwordx2 v[14:15], v[2:3], off
	global_store_dwordx2 v[16:17], v[4:5], off
	s_waitcnt lgkmcnt(1)
	global_store_dwordx2 v[18:19], v[6:7], off
	global_store_dwordx2 v[20:21], v[8:9], off
	v_add_nc_u32_e32 v6, 0x2c00, v24
	v_add_nc_u32_e32 v7, 0x3400, v24
	;; [unrolled: 1-line block ×3, first 2 shown]
	v_lshlrev_b64 v[2:3], 3, v[64:65]
	v_add_co_u32 v4, vcc_lo, v0, v22
	v_add_co_ci_u32_e32 v5, vcc_lo, v1, v23, vcc_lo
	v_add_nc_u32_e32 v64, 0x5e8, v60
	v_add_co_u32 v2, vcc_lo, v0, v2
	v_add_co_ci_u32_e32 v3, vcc_lo, v1, v3, vcc_lo
	v_lshlrev_b64 v[14:15], 3, v[64:65]
	v_add_nc_u32_e32 v64, 0x654, v60
	s_waitcnt lgkmcnt(0)
	global_store_dwordx2 v[4:5], v[10:11], off
	global_store_dwordx2 v[2:3], v[12:13], off
	ds_read2_b64 v[2:5], v6 offset0:104 offset1:212
	ds_read2_b64 v[6:9], v7 offset0:64 offset1:172
	v_lshlrev_b64 v[10:11], 3, v[64:65]
	v_add_nc_u32_e32 v64, 0x6c0, v60
	v_add_co_u32 v12, vcc_lo, v0, v14
	v_add_co_ci_u32_e32 v13, vcc_lo, v1, v15, vcc_lo
	v_lshlrev_b64 v[14:15], 3, v[64:65]
	v_add_co_u32 v10, vcc_lo, v0, v10
	v_add_co_ci_u32_e32 v11, vcc_lo, v1, v11, vcc_lo
	v_add_nc_u32_e32 v64, 0x72c, v60
	v_add_co_u32 v14, vcc_lo, v0, v14
	v_add_co_ci_u32_e32 v15, vcc_lo, v1, v15, vcc_lo
	v_lshlrev_b64 v[16:17], 3, v[64:65]
	v_add_nc_u32_e32 v64, 0x798, v60
	s_waitcnt lgkmcnt(1)
	global_store_dwordx2 v[12:13], v[2:3], off
	global_store_dwordx2 v[10:11], v[4:5], off
	s_waitcnt lgkmcnt(0)
	global_store_dwordx2 v[14:15], v[6:7], off
	ds_read2_b64 v[2:5], v18 offset0:24 offset1:132
	v_lshlrev_b64 v[6:7], 3, v[64:65]
	v_add_nc_u32_e32 v64, 0x804, v60
	v_add_co_u32 v10, vcc_lo, v0, v16
	v_add_co_ci_u32_e32 v11, vcc_lo, v1, v17, vcc_lo
	v_lshlrev_b64 v[12:13], 3, v[64:65]
	v_add_nc_u32_e32 v64, 0x870, v60
	v_add_co_u32 v6, vcc_lo, v0, v6
	v_add_co_ci_u32_e32 v7, vcc_lo, v1, v7, vcc_lo
	v_add_co_u32 v12, vcc_lo, v0, v12
	v_lshlrev_b64 v[14:15], 3, v[64:65]
	v_add_nc_u32_e32 v64, 0x8dc, v60
	v_add_co_ci_u32_e32 v13, vcc_lo, v1, v13, vcc_lo
	global_store_dwordx2 v[10:11], v[8:9], off
	s_waitcnt lgkmcnt(0)
	global_store_dwordx2 v[6:7], v[2:3], off
	global_store_dwordx2 v[12:13], v[4:5], off
	v_lshlrev_b64 v[10:11], 3, v[64:65]
	v_add_nc_u32_e32 v64, 0x948, v60
	v_add_nc_u32_e32 v16, 0x4000, v24
	;; [unrolled: 1-line block ×3, first 2 shown]
	v_add_co_u32 v14, vcc_lo, v0, v14
	v_lshlrev_b64 v[12:13], 3, v[64:65]
	v_add_nc_u32_e32 v64, 0x9b4, v60
	v_add_co_ci_u32_e32 v15, vcc_lo, v1, v15, vcc_lo
	ds_read2_b64 v[2:5], v16 offset0:112 offset1:220
	v_add_co_u32 v16, vcc_lo, v0, v10
	ds_read2_b64 v[6:9], v6 offset0:72 offset1:180
	v_add_co_ci_u32_e32 v17, vcc_lo, v1, v11, vcc_lo
	v_lshlrev_b64 v[10:11], 3, v[64:65]
	v_add_co_u32 v18, vcc_lo, v0, v12
	v_add_nc_u32_e32 v12, 0x5000, v24
	v_add_co_ci_u32_e32 v19, vcc_lo, v1, v13, vcc_lo
	v_add_co_u32 v20, vcc_lo, v0, v10
	v_add_nc_u32_e32 v64, 0xa20, v60
	v_add_co_ci_u32_e32 v21, vcc_lo, v1, v11, vcc_lo
	ds_read2_b64 v[10:13], v12 offset0:32 offset1:140
	s_waitcnt lgkmcnt(2)
	global_store_dwordx2 v[14:15], v[2:3], off
	global_store_dwordx2 v[16:17], v[4:5], off
	s_waitcnt lgkmcnt(1)
	global_store_dwordx2 v[18:19], v[6:7], off
	global_store_dwordx2 v[20:21], v[8:9], off
	v_lshlrev_b64 v[22:23], 3, v[64:65]
	v_add_nc_u32_e32 v64, 0xa8c, v60
	v_add_nc_u32_e32 v6, 0x5400, v24
	v_add_nc_u32_e32 v7, 0x5c00, v24
	v_lshlrev_b64 v[2:3], 3, v[64:65]
	v_add_nc_u32_e32 v64, 0xaf8, v60
	v_add_co_u32 v4, vcc_lo, v0, v22
	v_add_co_ci_u32_e32 v5, vcc_lo, v1, v23, vcc_lo
	v_lshlrev_b64 v[14:15], 3, v[64:65]
	v_add_nc_u32_e32 v64, 0xb64, v60
	v_add_co_u32 v2, vcc_lo, v0, v2
	v_add_co_ci_u32_e32 v3, vcc_lo, v1, v3, vcc_lo
	s_waitcnt lgkmcnt(0)
	global_store_dwordx2 v[4:5], v[10:11], off
	v_lshlrev_b64 v[10:11], 3, v[64:65]
	v_add_nc_u32_e32 v64, 0xbd0, v60
	global_store_dwordx2 v[2:3], v[12:13], off
	v_add_co_u32 v12, vcc_lo, v0, v14
	ds_read2_b64 v[2:5], v6 offset0:120 offset1:228
	v_add_co_ci_u32_e32 v13, vcc_lo, v1, v15, vcc_lo
	v_lshlrev_b64 v[14:15], 3, v[64:65]
	v_add_nc_u32_e32 v64, 0xc3c, v60
	ds_read2_b64 v[6:9], v7 offset0:80 offset1:188
	v_add_co_u32 v10, vcc_lo, v0, v10
	v_add_co_ci_u32_e32 v11, vcc_lo, v1, v11, vcc_lo
	v_lshlrev_b64 v[16:17], 3, v[64:65]
	v_add_co_u32 v14, vcc_lo, v0, v14
	v_add_co_ci_u32_e32 v15, vcc_lo, v1, v15, vcc_lo
	v_add_co_u32 v16, vcc_lo, v0, v16
	v_add_co_ci_u32_e32 v17, vcc_lo, v1, v17, vcc_lo
	v_cmp_eq_u32_e32 vcc_lo, 0x6b, v60
	s_waitcnt lgkmcnt(1)
	global_store_dwordx2 v[12:13], v[2:3], off
	global_store_dwordx2 v[10:11], v[4:5], off
	s_waitcnt lgkmcnt(0)
	global_store_dwordx2 v[14:15], v[6:7], off
	global_store_dwordx2 v[16:17], v[8:9], off
	s_and_b32 exec_lo, exec_lo, vcc_lo
	s_cbranch_execz .LBB0_20
; %bb.19:
	v_mov_b32_e32 v2, 0
	v_add_co_u32 v0, vcc_lo, 0x6000, v0
	v_add_co_ci_u32_e32 v1, vcc_lo, 0, v1, vcc_lo
	ds_read_b64 v[2:3], v2 offset:25920
	s_waitcnt lgkmcnt(0)
	global_store_dwordx2 v[0:1], v[2:3], off offset:1344
.LBB0_20:
	s_endpgm
	.section	.rodata,"a",@progbits
	.p2align	6, 0x0
	.amdhsa_kernel fft_rtc_fwd_len3240_factors_3_3_10_6_6_wgs_108_tpt_108_halfLds_sp_op_CI_CI_unitstride_sbrr_R2C_dirReg
		.amdhsa_group_segment_fixed_size 0
		.amdhsa_private_segment_fixed_size 0
		.amdhsa_kernarg_size 104
		.amdhsa_user_sgpr_count 6
		.amdhsa_user_sgpr_private_segment_buffer 1
		.amdhsa_user_sgpr_dispatch_ptr 0
		.amdhsa_user_sgpr_queue_ptr 0
		.amdhsa_user_sgpr_kernarg_segment_ptr 1
		.amdhsa_user_sgpr_dispatch_id 0
		.amdhsa_user_sgpr_flat_scratch_init 0
		.amdhsa_user_sgpr_private_segment_size 0
		.amdhsa_wavefront_size32 1
		.amdhsa_uses_dynamic_stack 0
		.amdhsa_system_sgpr_private_segment_wavefront_offset 0
		.amdhsa_system_sgpr_workgroup_id_x 1
		.amdhsa_system_sgpr_workgroup_id_y 0
		.amdhsa_system_sgpr_workgroup_id_z 0
		.amdhsa_system_sgpr_workgroup_info 0
		.amdhsa_system_vgpr_workitem_id 0
		.amdhsa_next_free_vgpr 140
		.amdhsa_next_free_sgpr 27
		.amdhsa_reserve_vcc 1
		.amdhsa_reserve_flat_scratch 0
		.amdhsa_float_round_mode_32 0
		.amdhsa_float_round_mode_16_64 0
		.amdhsa_float_denorm_mode_32 3
		.amdhsa_float_denorm_mode_16_64 3
		.amdhsa_dx10_clamp 1
		.amdhsa_ieee_mode 1
		.amdhsa_fp16_overflow 0
		.amdhsa_workgroup_processor_mode 1
		.amdhsa_memory_ordered 1
		.amdhsa_forward_progress 0
		.amdhsa_shared_vgpr_count 0
		.amdhsa_exception_fp_ieee_invalid_op 0
		.amdhsa_exception_fp_denorm_src 0
		.amdhsa_exception_fp_ieee_div_zero 0
		.amdhsa_exception_fp_ieee_overflow 0
		.amdhsa_exception_fp_ieee_underflow 0
		.amdhsa_exception_fp_ieee_inexact 0
		.amdhsa_exception_int_div_zero 0
	.end_amdhsa_kernel
	.text
.Lfunc_end0:
	.size	fft_rtc_fwd_len3240_factors_3_3_10_6_6_wgs_108_tpt_108_halfLds_sp_op_CI_CI_unitstride_sbrr_R2C_dirReg, .Lfunc_end0-fft_rtc_fwd_len3240_factors_3_3_10_6_6_wgs_108_tpt_108_halfLds_sp_op_CI_CI_unitstride_sbrr_R2C_dirReg
                                        ; -- End function
	.section	.AMDGPU.csdata,"",@progbits
; Kernel info:
; codeLenInByte = 19588
; NumSgprs: 29
; NumVgprs: 140
; ScratchSize: 0
; MemoryBound: 0
; FloatMode: 240
; IeeeMode: 1
; LDSByteSize: 0 bytes/workgroup (compile time only)
; SGPRBlocks: 3
; VGPRBlocks: 17
; NumSGPRsForWavesPerEU: 29
; NumVGPRsForWavesPerEU: 140
; Occupancy: 7
; WaveLimiterHint : 1
; COMPUTE_PGM_RSRC2:SCRATCH_EN: 0
; COMPUTE_PGM_RSRC2:USER_SGPR: 6
; COMPUTE_PGM_RSRC2:TRAP_HANDLER: 0
; COMPUTE_PGM_RSRC2:TGID_X_EN: 1
; COMPUTE_PGM_RSRC2:TGID_Y_EN: 0
; COMPUTE_PGM_RSRC2:TGID_Z_EN: 0
; COMPUTE_PGM_RSRC2:TIDIG_COMP_CNT: 0
	.text
	.p2alignl 6, 3214868480
	.fill 48, 4, 3214868480
	.type	__hip_cuid_f35bad8ffd8cb73c,@object ; @__hip_cuid_f35bad8ffd8cb73c
	.section	.bss,"aw",@nobits
	.globl	__hip_cuid_f35bad8ffd8cb73c
__hip_cuid_f35bad8ffd8cb73c:
	.byte	0                               ; 0x0
	.size	__hip_cuid_f35bad8ffd8cb73c, 1

	.ident	"AMD clang version 19.0.0git (https://github.com/RadeonOpenCompute/llvm-project roc-6.4.0 25133 c7fe45cf4b819c5991fe208aaa96edf142730f1d)"
	.section	".note.GNU-stack","",@progbits
	.addrsig
	.addrsig_sym __hip_cuid_f35bad8ffd8cb73c
	.amdgpu_metadata
---
amdhsa.kernels:
  - .args:
      - .actual_access:  read_only
        .address_space:  global
        .offset:         0
        .size:           8
        .value_kind:     global_buffer
      - .offset:         8
        .size:           8
        .value_kind:     by_value
      - .actual_access:  read_only
        .address_space:  global
        .offset:         16
        .size:           8
        .value_kind:     global_buffer
      - .actual_access:  read_only
        .address_space:  global
        .offset:         24
        .size:           8
        .value_kind:     global_buffer
      - .actual_access:  read_only
        .address_space:  global
        .offset:         32
        .size:           8
        .value_kind:     global_buffer
      - .offset:         40
        .size:           8
        .value_kind:     by_value
      - .actual_access:  read_only
        .address_space:  global
        .offset:         48
        .size:           8
        .value_kind:     global_buffer
      - .actual_access:  read_only
        .address_space:  global
        .offset:         56
        .size:           8
        .value_kind:     global_buffer
      - .offset:         64
        .size:           4
        .value_kind:     by_value
      - .actual_access:  read_only
        .address_space:  global
        .offset:         72
        .size:           8
        .value_kind:     global_buffer
      - .actual_access:  read_only
        .address_space:  global
        .offset:         80
        .size:           8
        .value_kind:     global_buffer
      - .actual_access:  read_only
        .address_space:  global
        .offset:         88
        .size:           8
        .value_kind:     global_buffer
      - .actual_access:  write_only
        .address_space:  global
        .offset:         96
        .size:           8
        .value_kind:     global_buffer
    .group_segment_fixed_size: 0
    .kernarg_segment_align: 8
    .kernarg_segment_size: 104
    .language:       OpenCL C
    .language_version:
      - 2
      - 0
    .max_flat_workgroup_size: 108
    .name:           fft_rtc_fwd_len3240_factors_3_3_10_6_6_wgs_108_tpt_108_halfLds_sp_op_CI_CI_unitstride_sbrr_R2C_dirReg
    .private_segment_fixed_size: 0
    .sgpr_count:     29
    .sgpr_spill_count: 0
    .symbol:         fft_rtc_fwd_len3240_factors_3_3_10_6_6_wgs_108_tpt_108_halfLds_sp_op_CI_CI_unitstride_sbrr_R2C_dirReg.kd
    .uniform_work_group_size: 1
    .uses_dynamic_stack: false
    .vgpr_count:     140
    .vgpr_spill_count: 0
    .wavefront_size: 32
    .workgroup_processor_mode: 1
amdhsa.target:   amdgcn-amd-amdhsa--gfx1030
amdhsa.version:
  - 1
  - 2
...

	.end_amdgpu_metadata
